;; amdgpu-corpus repo=ROCm/rocFFT kind=compiled arch=gfx1030 opt=O3
	.text
	.amdgcn_target "amdgcn-amd-amdhsa--gfx1030"
	.amdhsa_code_object_version 6
	.protected	fft_rtc_back_len952_factors_17_4_2_7_wgs_204_tpt_68_halfLds_dp_op_CI_CI_unitstride_sbrr_dirReg ; -- Begin function fft_rtc_back_len952_factors_17_4_2_7_wgs_204_tpt_68_halfLds_dp_op_CI_CI_unitstride_sbrr_dirReg
	.globl	fft_rtc_back_len952_factors_17_4_2_7_wgs_204_tpt_68_halfLds_dp_op_CI_CI_unitstride_sbrr_dirReg
	.p2align	8
	.type	fft_rtc_back_len952_factors_17_4_2_7_wgs_204_tpt_68_halfLds_dp_op_CI_CI_unitstride_sbrr_dirReg,@function
fft_rtc_back_len952_factors_17_4_2_7_wgs_204_tpt_68_halfLds_dp_op_CI_CI_unitstride_sbrr_dirReg: ; @fft_rtc_back_len952_factors_17_4_2_7_wgs_204_tpt_68_halfLds_dp_op_CI_CI_unitstride_sbrr_dirReg
; %bb.0:
	s_load_dwordx4 s[12:15], s[4:5], 0x0
	v_mul_u32_u24_e32 v1, 0x3c4, v0
	s_clause 0x1
	s_load_dwordx4 s[8:11], s[4:5], 0x58
	s_load_dwordx4 s[16:19], s[4:5], 0x18
	v_mov_b32_e32 v3, 0
	s_mov_b64 s[62:63], s[2:3]
	s_mov_b64 s[60:61], s[0:1]
	v_lshrrev_b32_e32 v4, 16, v1
	v_mov_b32_e32 v1, 0
	v_mov_b32_e32 v2, 0
	s_add_u32 s60, s60, s7
	s_addc_u32 s61, s61, 0
	v_mad_u64_u32 v[76:77], null, s6, 3, v[4:5]
	v_mov_b32_e32 v77, v3
	v_mov_b32_e32 v105, v2
	;; [unrolled: 1-line block ×5, first 2 shown]
	s_waitcnt lgkmcnt(0)
	v_cmp_lt_u64_e64 s0, s[14:15], 2
	s_and_b32 vcc_lo, exec_lo, s0
	s_cbranch_vccnz .LBB0_8
; %bb.1:
	s_load_dwordx2 s[0:1], s[4:5], 0x10
	v_mov_b32_e32 v1, 0
	v_mov_b32_e32 v2, 0
	s_add_u32 s2, s18, 8
	v_mov_b32_e32 v5, v76
	s_addc_u32 s3, s19, 0
	v_mov_b32_e32 v6, v77
	v_mov_b32_e32 v105, v2
	s_add_u32 s6, s16, 8
	v_mov_b32_e32 v104, v1
	s_addc_u32 s7, s17, 0
	s_mov_b64 s[22:23], 1
	s_waitcnt lgkmcnt(0)
	s_add_u32 s20, s0, 8
	s_addc_u32 s21, s1, 0
.LBB0_2:                                ; =>This Inner Loop Header: Depth=1
	s_load_dwordx2 s[24:25], s[20:21], 0x0
                                        ; implicit-def: $vgpr108_vgpr109
	s_mov_b32 s0, exec_lo
	s_waitcnt lgkmcnt(0)
	v_or_b32_e32 v4, s25, v6
	v_cmpx_ne_u64_e32 0, v[3:4]
	s_xor_b32 s1, exec_lo, s0
	s_cbranch_execz .LBB0_4
; %bb.3:                                ;   in Loop: Header=BB0_2 Depth=1
	v_cvt_f32_u32_e32 v4, s24
	v_cvt_f32_u32_e32 v7, s25
	s_sub_u32 s0, 0, s24
	s_subb_u32 s26, 0, s25
	v_fmac_f32_e32 v4, 0x4f800000, v7
	v_rcp_f32_e32 v4, v4
	v_mul_f32_e32 v4, 0x5f7ffffc, v4
	v_mul_f32_e32 v7, 0x2f800000, v4
	v_trunc_f32_e32 v7, v7
	v_fmac_f32_e32 v4, 0xcf800000, v7
	v_cvt_u32_f32_e32 v7, v7
	v_cvt_u32_f32_e32 v4, v4
	v_mul_lo_u32 v8, s0, v7
	v_mul_hi_u32 v9, s0, v4
	v_mul_lo_u32 v10, s26, v4
	v_add_nc_u32_e32 v8, v9, v8
	v_mul_lo_u32 v9, s0, v4
	v_add_nc_u32_e32 v8, v8, v10
	v_mul_hi_u32 v10, v4, v9
	v_mul_lo_u32 v11, v4, v8
	v_mul_hi_u32 v12, v4, v8
	v_mul_hi_u32 v13, v7, v9
	v_mul_lo_u32 v9, v7, v9
	v_mul_hi_u32 v14, v7, v8
	v_mul_lo_u32 v8, v7, v8
	v_add_co_u32 v10, vcc_lo, v10, v11
	v_add_co_ci_u32_e32 v11, vcc_lo, 0, v12, vcc_lo
	v_add_co_u32 v9, vcc_lo, v10, v9
	v_add_co_ci_u32_e32 v9, vcc_lo, v11, v13, vcc_lo
	v_add_co_ci_u32_e32 v10, vcc_lo, 0, v14, vcc_lo
	v_add_co_u32 v8, vcc_lo, v9, v8
	v_add_co_ci_u32_e32 v9, vcc_lo, 0, v10, vcc_lo
	v_add_co_u32 v4, vcc_lo, v4, v8
	v_add_co_ci_u32_e32 v7, vcc_lo, v7, v9, vcc_lo
	v_mul_hi_u32 v8, s0, v4
	v_mul_lo_u32 v10, s26, v4
	v_mul_lo_u32 v9, s0, v7
	v_add_nc_u32_e32 v8, v8, v9
	v_mul_lo_u32 v9, s0, v4
	v_add_nc_u32_e32 v8, v8, v10
	v_mul_hi_u32 v10, v4, v9
	v_mul_lo_u32 v11, v4, v8
	v_mul_hi_u32 v12, v4, v8
	v_mul_hi_u32 v13, v7, v9
	v_mul_lo_u32 v9, v7, v9
	v_mul_hi_u32 v14, v7, v8
	v_mul_lo_u32 v8, v7, v8
	v_add_co_u32 v10, vcc_lo, v10, v11
	v_add_co_ci_u32_e32 v11, vcc_lo, 0, v12, vcc_lo
	v_add_co_u32 v9, vcc_lo, v10, v9
	v_add_co_ci_u32_e32 v9, vcc_lo, v11, v13, vcc_lo
	v_add_co_ci_u32_e32 v10, vcc_lo, 0, v14, vcc_lo
	v_add_co_u32 v8, vcc_lo, v9, v8
	v_add_co_ci_u32_e32 v9, vcc_lo, 0, v10, vcc_lo
	v_add_co_u32 v4, vcc_lo, v4, v8
	v_add_co_ci_u32_e32 v11, vcc_lo, v7, v9, vcc_lo
	v_mul_hi_u32 v13, v5, v4
	v_mad_u64_u32 v[9:10], null, v6, v4, 0
	v_mad_u64_u32 v[7:8], null, v5, v11, 0
	;; [unrolled: 1-line block ×3, first 2 shown]
	v_add_co_u32 v4, vcc_lo, v13, v7
	v_add_co_ci_u32_e32 v7, vcc_lo, 0, v8, vcc_lo
	v_add_co_u32 v4, vcc_lo, v4, v9
	v_add_co_ci_u32_e32 v4, vcc_lo, v7, v10, vcc_lo
	v_add_co_ci_u32_e32 v7, vcc_lo, 0, v12, vcc_lo
	v_add_co_u32 v4, vcc_lo, v4, v11
	v_add_co_ci_u32_e32 v9, vcc_lo, 0, v7, vcc_lo
	v_mul_lo_u32 v10, s25, v4
	v_mad_u64_u32 v[7:8], null, s24, v4, 0
	v_mul_lo_u32 v11, s24, v9
	v_sub_co_u32 v7, vcc_lo, v5, v7
	v_add3_u32 v8, v8, v11, v10
	v_sub_nc_u32_e32 v10, v6, v8
	v_subrev_co_ci_u32_e64 v10, s0, s25, v10, vcc_lo
	v_add_co_u32 v11, s0, v4, 2
	v_add_co_ci_u32_e64 v12, s0, 0, v9, s0
	v_sub_co_u32 v13, s0, v7, s24
	v_sub_co_ci_u32_e32 v8, vcc_lo, v6, v8, vcc_lo
	v_subrev_co_ci_u32_e64 v10, s0, 0, v10, s0
	v_cmp_le_u32_e32 vcc_lo, s24, v13
	v_cmp_eq_u32_e64 s0, s25, v8
	v_cndmask_b32_e64 v13, 0, -1, vcc_lo
	v_cmp_le_u32_e32 vcc_lo, s25, v10
	v_cndmask_b32_e64 v14, 0, -1, vcc_lo
	v_cmp_le_u32_e32 vcc_lo, s24, v7
	v_cndmask_b32_e64 v7, 0, -1, vcc_lo
	v_cmp_le_u32_e32 vcc_lo, s25, v8
	v_cndmask_b32_e64 v15, 0, -1, vcc_lo
	v_cmp_eq_u32_e32 vcc_lo, s25, v10
	v_cndmask_b32_e64 v7, v15, v7, s0
	v_cndmask_b32_e32 v10, v14, v13, vcc_lo
	v_add_co_u32 v13, vcc_lo, v4, 1
	v_add_co_ci_u32_e32 v14, vcc_lo, 0, v9, vcc_lo
	v_cmp_ne_u32_e32 vcc_lo, 0, v10
	v_cndmask_b32_e32 v8, v14, v12, vcc_lo
	v_cndmask_b32_e32 v10, v13, v11, vcc_lo
	v_cmp_ne_u32_e32 vcc_lo, 0, v7
	v_cndmask_b32_e32 v109, v9, v8, vcc_lo
	v_cndmask_b32_e32 v108, v4, v10, vcc_lo
.LBB0_4:                                ;   in Loop: Header=BB0_2 Depth=1
	s_andn2_saveexec_b32 s0, s1
	s_cbranch_execz .LBB0_6
; %bb.5:                                ;   in Loop: Header=BB0_2 Depth=1
	v_cvt_f32_u32_e32 v4, s24
	s_sub_i32 s1, 0, s24
	v_mov_b32_e32 v109, v3
	v_rcp_iflag_f32_e32 v4, v4
	v_mul_f32_e32 v4, 0x4f7ffffe, v4
	v_cvt_u32_f32_e32 v4, v4
	v_mul_lo_u32 v7, s1, v4
	v_mul_hi_u32 v7, v4, v7
	v_add_nc_u32_e32 v4, v4, v7
	v_mul_hi_u32 v4, v5, v4
	v_mul_lo_u32 v7, v4, s24
	v_add_nc_u32_e32 v8, 1, v4
	v_sub_nc_u32_e32 v7, v5, v7
	v_subrev_nc_u32_e32 v9, s24, v7
	v_cmp_le_u32_e32 vcc_lo, s24, v7
	v_cndmask_b32_e32 v7, v7, v9, vcc_lo
	v_cndmask_b32_e32 v4, v4, v8, vcc_lo
	v_cmp_le_u32_e32 vcc_lo, s24, v7
	v_add_nc_u32_e32 v8, 1, v4
	v_cndmask_b32_e32 v108, v4, v8, vcc_lo
.LBB0_6:                                ;   in Loop: Header=BB0_2 Depth=1
	s_or_b32 exec_lo, exec_lo, s0
	v_mul_lo_u32 v4, v109, s24
	v_mul_lo_u32 v9, v108, s25
	s_load_dwordx2 s[0:1], s[6:7], 0x0
	v_mad_u64_u32 v[7:8], null, v108, s24, 0
	s_load_dwordx2 s[24:25], s[2:3], 0x0
	s_add_u32 s22, s22, 1
	s_addc_u32 s23, s23, 0
	s_add_u32 s2, s2, 8
	s_addc_u32 s3, s3, 0
	s_add_u32 s6, s6, 8
	v_add3_u32 v4, v8, v9, v4
	v_sub_co_u32 v5, vcc_lo, v5, v7
	s_addc_u32 s7, s7, 0
	s_add_u32 s20, s20, 8
	v_sub_co_ci_u32_e32 v4, vcc_lo, v6, v4, vcc_lo
	s_addc_u32 s21, s21, 0
	s_waitcnt lgkmcnt(0)
	v_mul_lo_u32 v6, s0, v4
	v_mul_lo_u32 v7, s1, v5
	v_mad_u64_u32 v[1:2], null, s0, v5, v[1:2]
	v_mul_lo_u32 v4, s24, v4
	v_mul_lo_u32 v8, s25, v5
	v_mad_u64_u32 v[104:105], null, s24, v5, v[104:105]
	v_cmp_ge_u64_e64 s0, s[22:23], s[14:15]
	v_add3_u32 v2, v7, v2, v6
	v_add3_u32 v105, v8, v105, v4
	s_and_b32 vcc_lo, exec_lo, s0
	s_cbranch_vccnz .LBB0_8
; %bb.7:                                ;   in Loop: Header=BB0_2 Depth=1
	v_mov_b32_e32 v5, v108
	v_mov_b32_e32 v6, v109
	s_branch .LBB0_2
.LBB0_8:
	s_load_dwordx2 s[0:1], s[4:5], 0x28
	v_mul_hi_u32 v3, 0x3c3c3c4, v0
	s_lshl_b64 s[4:5], s[14:15], 3
                                        ; implicit-def: $vgpr34_vgpr35
                                        ; implicit-def: $vgpr54_vgpr55
                                        ; implicit-def: $vgpr22_vgpr23
                                        ; implicit-def: $vgpr26_vgpr27
                                        ; implicit-def: $vgpr30_vgpr31
                                        ; implicit-def: $vgpr38_vgpr39
                                        ; implicit-def: $vgpr42_vgpr43
                                        ; implicit-def: $vgpr46_vgpr47
                                        ; implicit-def: $vgpr6_vgpr7
                                        ; implicit-def: $vgpr18_vgpr19
                                        ; implicit-def: $vgpr58_vgpr59
                                        ; implicit-def: $vgpr66_vgpr67
                                        ; implicit-def: $vgpr50_vgpr51
                                        ; implicit-def: $vgpr62_vgpr63
                                        ; implicit-def: $vgpr70_vgpr71
                                        ; implicit-def: $vgpr74_vgpr75
                                        ; implicit-def: $vgpr14_vgpr15
	s_add_u32 s2, s18, s4
	s_addc_u32 s3, s19, s5
	v_mul_u32_u24_e32 v3, 0x44, v3
	v_sub_nc_u32_e32 v106, v0, v3
	s_waitcnt lgkmcnt(0)
	v_cmp_gt_u64_e32 vcc_lo, s[0:1], v[108:109]
	v_cmp_gt_u32_e64 s0, 56, v106
	s_and_b32 s1, vcc_lo, s0
	s_and_saveexec_b32 s6, s1
	s_cbranch_execz .LBB0_10
; %bb.9:
	s_add_u32 s4, s16, s4
	s_addc_u32 s5, s17, s5
	v_mov_b32_e32 v107, 0
	s_load_dwordx2 s[4:5], s[4:5], 0x0
	v_or_b32_e32 v6, 0x380, v106
	v_lshlrev_b64 v[8:9], 4, v[106:107]
	v_mov_b32_e32 v7, v107
	s_waitcnt lgkmcnt(0)
	v_mul_lo_u32 v0, s5, v108
	v_mul_lo_u32 v5, s4, v109
	v_mad_u64_u32 v[3:4], null, s4, v108, 0
	v_add3_u32 v4, v4, v5, v0
	v_lshlrev_b64 v[0:1], 4, v[1:2]
	v_mov_b32_e32 v5, v107
	v_lshlrev_b64 v[2:3], 4, v[3:4]
	v_or_b32_e32 v4, 0x1c0, v106
	v_add_co_u32 v2, s1, s8, v2
	v_add_co_ci_u32_e64 v3, s1, s9, v3, s1
	v_add_co_u32 v36, s1, v2, v0
	v_add_co_ci_u32_e64 v37, s1, v3, v1, s1
	v_lshlrev_b64 v[0:1], 4, v[4:5]
	v_add_co_u32 v2, s1, v36, v8
	v_add_co_ci_u32_e64 v3, s1, v37, v9, s1
	s_clause 0x1
	global_load_dwordx4 v[12:15], v[2:3], off
	global_load_dwordx4 v[32:35], v[2:3], off offset:896
	v_add_co_u32 v0, s1, v36, v0
	v_add_co_ci_u32_e64 v1, s1, v37, v1, s1
	v_add_co_u32 v4, s1, 0x800, v2
	v_add_co_ci_u32_e64 v5, s1, 0, v3, s1
	;; [unrolled: 2-line block ×5, first 2 shown]
	v_add_co_u32 v18, s1, 0x2800, v2
	s_clause 0x7
	global_load_dwordx4 v[52:55], v[2:3], off offset:1792
	global_load_dwordx4 v[72:75], v[4:5], off offset:640
	global_load_dwordx4 v[68:71], v[4:5], off offset:1536
	global_load_dwordx4 v[20:23], v[8:9], off offset:384
	global_load_dwordx4 v[24:27], v[8:9], off offset:1280
	global_load_dwordx4 v[60:63], v[10:11], off offset:128
	global_load_dwordx4 v[48:51], v[0:1], off
	global_load_dwordx4 v[28:31], v[10:11], off offset:1920
	v_lshlrev_b64 v[0:1], 4, v[6:7]
	v_add_co_ci_u32_e64 v19, s1, 0, v3, s1
	v_add_co_u32 v2, s1, 0x3000, v2
	v_add_co_ci_u32_e64 v3, s1, 0, v3, s1
	v_add_co_u32 v0, s1, v36, v0
	v_add_co_ci_u32_e64 v1, s1, v37, v1, s1
	s_clause 0x6
	global_load_dwordx4 v[36:39], v[16:17], off offset:768
	global_load_dwordx4 v[64:67], v[16:17], off offset:1664
	;; [unrolled: 1-line block ×6, first 2 shown]
	global_load_dwordx4 v[4:7], v[0:1], off
.LBB0_10:
	s_or_b32 exec_lo, exec_lo, s6
	s_waitcnt vmcnt(0)
	v_add_f64 v[77:78], v[34:35], -v[6:7]
	s_mov_b32 s6, 0x2a9d6da3
	s_mov_b32 s14, 0xeb564b22
	;; [unrolled: 1-line block ×8, first 2 shown]
	v_add_f64 v[81:82], v[32:33], v[4:5]
	v_add_f64 v[79:80], v[54:55], -v[18:19]
	s_mov_b32 s16, 0x75d4884
	s_mov_b32 s24, 0x3259b75e
	;; [unrolled: 1-line block ×11, first 2 shown]
	v_mul_f64 v[99:100], v[77:78], s[6:7]
	v_mul_f64 v[110:111], v[77:78], s[4:5]
	;; [unrolled: 1-line block ×4, first 2 shown]
	s_mov_b32 s19, 0xbfc7851a
	s_mov_b32 s51, 0xbfd183b1
	;; [unrolled: 1-line block ×3, first 2 shown]
	v_add_f64 v[101:102], v[52:53], v[16:17]
	v_add_f64 v[124:125], v[74:75], -v[46:47]
	s_mov_b32 s40, 0x6ed5f1bb
	v_mul_f64 v[128:129], v[79:80], s[14:15]
	v_mul_f64 v[134:135], v[79:80], s[34:35]
	;; [unrolled: 1-line block ×4, first 2 shown]
	s_mov_b32 s44, 0x7faef3
	s_mov_b32 s48, 0x910ea3b9
	;; [unrolled: 1-line block ×8, first 2 shown]
	v_fma_f64 v[0:1], v[81:82], s[16:17], -v[99:100]
	v_fma_f64 v[2:3], v[81:82], s[38:39], -v[110:111]
	;; [unrolled: 1-line block ×4, first 2 shown]
	s_mov_b32 s20, s18
	s_mov_b32 s36, s8
	;; [unrolled: 1-line block ×3, first 2 shown]
	v_add_f64 v[156:157], v[44:45], v[72:73]
	v_add_f64 v[114:115], v[70:71], -v[42:43]
	v_mul_f64 v[132:133], v[124:125], s[34:35]
	v_mul_f64 v[140:141], v[124:125], s[20:21]
	;; [unrolled: 1-line block ×4, first 2 shown]
	v_fma_f64 v[83:84], v[101:102], s[24:25], -v[128:129]
	v_fma_f64 v[85:86], v[101:102], s[40:41], -v[134:135]
	;; [unrolled: 1-line block ×4, first 2 shown]
	s_mov_b32 s42, 0x5d8e7cdc
	s_mov_b32 s43, 0x3fd71e95
	v_add_f64 v[164:165], v[40:41], v[68:69]
	v_add_f64 v[116:117], v[22:23], -v[58:59]
	s_mov_b32 s56, 0x370991
	v_add_f64 v[0:1], v[0:1], v[12:13]
	v_add_f64 v[2:3], v[2:3], v[12:13]
	;; [unrolled: 1-line block ×4, first 2 shown]
	s_mov_b32 s57, 0x3fedd6d0
	v_add_f64 v[168:169], v[20:21], v[56:57]
	v_add_f64 v[118:119], v[26:27], -v[66:67]
	s_mov_b32 s53, 0xbfd71e95
	v_mul_f64 v[120:121], v[114:115], s[18:19]
	v_mul_f64 v[122:123], v[114:115], s[36:37]
	v_mul_f64 v[152:153], v[114:115], s[42:43]
	v_mul_f64 v[166:167], v[114:115], s[4:5]
	v_fma_f64 v[91:92], v[156:157], s[40:41], -v[132:133]
	v_fma_f64 v[93:94], v[156:157], s[44:45], -v[140:141]
	;; [unrolled: 1-line block ×4, first 2 shown]
	s_mov_b32 s27, 0xbfe0d888
	s_mov_b32 s47, 0x3fefdd0d
	;; [unrolled: 1-line block ×4, first 2 shown]
	v_mul_f64 v[126:127], v[116:117], s[22:23]
	v_mul_f64 v[146:147], v[116:117], s[30:31]
	v_add_f64 v[0:1], v[83:84], v[0:1]
	v_add_f64 v[2:3], v[85:86], v[2:3]
	v_add_f64 v[8:9], v[87:88], v[8:9]
	v_add_f64 v[10:11], v[89:90], v[10:11]
	v_mul_f64 v[160:161], v[116:117], s[4:5]
	v_mul_f64 v[172:173], v[116:117], s[18:19]
	s_mov_b32 s46, s14
	v_add_f64 v[174:175], v[24:25], v[64:65]
	v_fma_f64 v[85:86], v[164:165], s[44:45], -v[120:121]
	v_fma_f64 v[87:88], v[164:165], s[50:51], -v[122:123]
	;; [unrolled: 1-line block ×4, first 2 shown]
	v_add_f64 v[83:84], v[62:63], -v[38:39]
	v_mul_f64 v[136:137], v[118:119], s[36:37]
	v_mul_f64 v[158:159], v[118:119], s[52:53]
	;; [unrolled: 1-line block ×4, first 2 shown]
	s_mov_b32 s29, 0x3feca52d
	s_mov_b32 s55, 0x3fe9895b
	;; [unrolled: 1-line block ×4, first 2 shown]
	v_add_f64 v[148:149], v[36:37], v[60:61]
	v_add_f64 v[0:1], v[91:92], v[0:1]
	;; [unrolled: 1-line block ×5, first 2 shown]
	v_fma_f64 v[91:92], v[168:169], s[48:49], -v[126:127]
	v_fma_f64 v[95:96], v[168:169], s[16:17], -v[146:147]
	;; [unrolled: 1-line block ×4, first 2 shown]
	v_mul_f64 v[93:94], v[83:84], s[28:29]
	v_mul_f64 v[97:98], v[83:84], s[14:15]
	;; [unrolled: 1-line block ×3, first 2 shown]
	v_fma_f64 v[182:183], v[174:175], s[50:51], -v[136:137]
	v_fma_f64 v[184:185], v[174:175], s[56:57], -v[158:159]
	;; [unrolled: 1-line block ×4, first 2 shown]
	v_add_f64 v[0:1], v[85:86], v[0:1]
	v_add_f64 v[2:3], v[87:88], v[2:3]
	;; [unrolled: 1-line block ×4, first 2 shown]
	v_add_f64 v[85:86], v[50:51], -v[30:31]
	v_mul_f64 v[112:113], v[83:84], s[54:55]
	v_fma_f64 v[190:191], v[148:149], s[24:25], -v[97:98]
	v_fma_f64 v[194:195], v[148:149], s[56:57], -v[178:179]
	v_add_f64 v[0:1], v[91:92], v[0:1]
	v_add_f64 v[2:3], v[95:96], v[2:3]
	;; [unrolled: 1-line block ×5, first 2 shown]
	v_mul_f64 v[196:197], v[85:86], s[42:43]
	v_mul_f64 v[89:90], v[85:86], s[26:27]
	;; [unrolled: 1-line block ×4, first 2 shown]
	v_fma_f64 v[180:181], v[148:149], s[38:39], -v[93:94]
	v_fma_f64 v[192:193], v[148:149], s[40:41], -v[112:113]
	v_add_f64 v[0:1], v[182:183], v[0:1]
	v_add_f64 v[2:3], v[184:185], v[2:3]
	;; [unrolled: 1-line block ×4, first 2 shown]
	v_fma_f64 v[182:183], v[150:151], s[56:57], -v[196:197]
	v_fma_f64 v[184:185], v[150:151], s[48:49], -v[89:90]
	;; [unrolled: 1-line block ×4, first 2 shown]
	v_add_f64 v[0:1], v[180:181], v[0:1]
	v_add_f64 v[180:181], v[190:191], v[2:3]
	;; [unrolled: 1-line block ×4, first 2 shown]
	v_mul_hi_u32 v2, 0xaaaaaaab, v76
	v_lshrrev_b32_e32 v87, 1, v2
	v_lshl_add_u32 v87, v87, 1, v87
	v_sub_nc_u32_e32 v76, v76, v87
	v_add_f64 v[2:3], v[182:183], v[0:1]
	v_add_f64 v[0:1], v[184:185], v[180:181]
	;; [unrolled: 1-line block ×4, first 2 shown]
	v_mul_u32_u24_e32 v76, 0x3b8, v76
	v_lshlrev_b32_e32 v180, 3, v76
	s_and_saveexec_b32 s1, s0
	s_cbranch_execz .LBB0_12
; %bb.11:
	buffer_store_dword v196, off, s[60:63], 0 ; 4-byte Folded Spill
	buffer_store_dword v197, off, s[60:63], 0 offset:4 ; 4-byte Folded Spill
	v_mul_f64 v[195:196], v[81:82], s[50:51]
	v_mul_f64 v[205:206], v[81:82], s[44:45]
	;; [unrolled: 1-line block ×26, first 2 shown]
	v_add_f64 v[144:145], v[144:145], v[195:196]
	v_add_f64 v[138:139], v[138:139], v[209:210]
	v_fma_f64 v[209:210], v[77:78], s[20:21], v[205:206]
	v_add_f64 v[130:131], v[130:131], v[207:208]
	v_fma_f64 v[205:206], v[77:78], s[18:19], v[205:206]
	;; [unrolled: 2-line block ×7, first 2 shown]
	v_fma_f64 v[76:77], v[77:78], s[52:53], v[81:82]
	v_add_f64 v[181:182], v[32:33], v[12:13]
	v_mul_f64 v[183:184], v[148:149], s[56:57]
	v_add_f64 v[128:129], v[128:129], v[241:242]
	v_fma_f64 v[241:242], v[124:125], s[22:23], v[227:228]
	v_fma_f64 v[227:228], v[124:125], s[26:27], v[227:228]
	v_add_f64 v[158:159], v[158:159], v[243:244]
	v_fma_f64 v[243:244], v[124:125], s[46:47], v[231:232]
	v_fma_f64 v[231:232], v[124:125], s[14:15], v[231:232]
	v_add_f64 v[209:210], v[209:210], v[12:13]
	v_fma_f64 v[81:82], v[124:125], s[42:43], v[233:234]
	v_add_f64 v[205:206], v[205:206], v[12:13]
	;; [unrolled: 2-line block ×3, first 2 shown]
	v_add_f64 v[132:133], v[132:133], v[249:250]
	v_add_f64 v[217:218], v[217:218], v[12:13]
	v_fma_f64 v[249:250], v[124:125], s[28:29], v[156:157]
	v_add_f64 v[225:226], v[225:226], v[12:13]
	v_fma_f64 v[124:125], v[124:125], s[4:5], v[156:157]
	;; [unrolled: 2-line block ×3, first 2 shown]
	v_add_f64 v[144:145], v[144:145], v[12:13]
	v_add_f64 v[110:111], v[110:111], v[12:13]
	v_add_f64 v[99:100], v[99:100], v[12:13]
	v_add_f64 v[130:131], v[130:131], v[12:13]
	v_add_f64 v[76:77], v[76:77], v[12:13]
	v_add_f64 v[12:13], v[245:246], v[12:13]
	v_mul_f64 v[189:190], v[164:165], s[38:39]
	v_mul_f64 v[201:202], v[164:165], s[56:57]
	;; [unrolled: 1-line block ×6, first 2 shown]
	v_add_f64 v[178:179], v[178:179], v[183:184]
	v_mul_f64 v[183:184], v[164:165], s[44:45]
	v_add_f64 v[154:155], v[154:155], v[193:194]
	v_mul_f64 v[164:165], v[164:165], s[24:25]
	v_fma_f64 v[229:230], v[79:80], s[8:9], v[223:224]
	v_fma_f64 v[223:224], v[79:80], s[36:37], v[223:224]
	v_mul_f64 v[185:186], v[174:175], s[24:25]
	v_mul_f64 v[187:188], v[168:169], s[44:45]
	;; [unrolled: 1-line block ×4, first 2 shown]
	v_add_f64 v[162:163], v[162:163], v[191:192]
	v_mul_f64 v[191:192], v[168:169], s[56:57]
	v_mul_f64 v[193:194], v[168:169], s[24:25]
	v_add_f64 v[110:111], v[134:135], v[110:111]
	v_add_f64 v[99:100], v[128:129], v[99:100]
	v_add_f64 v[12:13], v[221:222], v[12:13]
	v_add_f64 v[166:167], v[166:167], v[189:190]
	v_mul_f64 v[189:190], v[168:169], s[40:41]
	v_mul_f64 v[168:169], v[168:169], s[50:51]
	;; [unrolled: 1-line block ×5, first 2 shown]
	v_add_f64 v[130:131], v[138:139], v[130:131]
	v_fma_f64 v[138:139], v[114:115], s[22:23], v[239:240]
	v_add_f64 v[144:145], v[154:155], v[144:145]
	v_fma_f64 v[221:222], v[114:115], s[46:47], v[164:165]
	v_fma_f64 v[239:240], v[114:115], s[26:27], v[239:240]
	v_add_f64 v[156:157], v[223:224], v[156:157]
	v_add_f64 v[176:177], v[176:177], v[185:186]
	v_mul_f64 v[185:186], v[174:175], s[44:45]
	v_add_f64 v[172:173], v[172:173], v[187:188]
	v_mul_f64 v[187:188], v[174:175], s[16:17]
	v_mul_f64 v[174:175], v[174:175], s[40:41]
	v_add_f64 v[122:123], v[122:123], v[247:248]
	v_add_f64 v[181:182], v[52:53], v[181:182]
	;; [unrolled: 1-line block ×5, first 2 shown]
	v_fma_f64 v[207:208], v[79:80], s[52:53], v[211:212]
	v_fma_f64 v[211:212], v[79:80], s[42:43], v[211:212]
	;; [unrolled: 1-line block ×5, first 2 shown]
	v_add_f64 v[142:143], v[142:143], v[203:204]
	v_add_f64 v[225:226], v[229:230], v[225:226]
	;; [unrolled: 1-line block ×4, first 2 shown]
	v_fma_f64 v[162:163], v[116:117], s[52:53], v[191:192]
	v_add_f64 v[152:153], v[152:153], v[201:202]
	v_add_f64 v[132:133], v[233:234], v[156:157]
	v_fma_f64 v[156:157], v[116:117], s[42:43], v[191:192]
	v_fma_f64 v[191:192], v[116:117], s[36:37], v[168:169]
	;; [unrolled: 1-line block ×6, first 2 shown]
	v_add_f64 v[181:182], v[72:73], v[181:182]
	v_add_f64 v[110:111], v[122:123], v[110:111]
	v_fma_f64 v[114:115], v[114:115], s[14:15], v[164:165]
	v_add_f64 v[12:13], v[221:222], v[12:13]
	v_add_f64 v[207:208], v[207:208], v[209:210]
	;; [unrolled: 1-line block ×11, first 2 shown]
	v_fma_f64 v[183:184], v[118:119], s[20:21], v[185:186]
	v_add_f64 v[122:123], v[239:240], v[132:133]
	v_fma_f64 v[132:133], v[118:119], s[54:55], v[174:175]
	v_fma_f64 v[140:141], v[116:117], s[54:55], v[189:190]
	;; [unrolled: 1-line block ×4, first 2 shown]
	v_add_f64 v[144:145], v[166:167], v[144:145]
	v_mul_f64 v[195:196], v[148:149], s[38:39]
	v_add_f64 v[181:182], v[68:69], v[181:182]
	v_add_f64 v[170:171], v[170:171], v[197:198]
	v_mul_f64 v[197:198], v[148:149], s[24:25]
	v_add_f64 v[12:13], v[191:192], v[12:13]
	v_add_f64 v[164:165], v[241:242], v[207:208]
	;; [unrolled: 1-line block ×6, first 2 shown]
	v_fma_f64 v[124:125], v[118:119], s[18:19], v[185:186]
	v_fma_f64 v[185:186], v[116:117], s[14:15], v[193:194]
	v_fma_f64 v[116:117], v[116:117], s[8:9], v[168:169]
	v_add_f64 v[120:121], v[152:153], v[130:131]
	v_add_f64 v[80:81], v[138:139], v[80:81]
	;; [unrolled: 1-line block ×5, first 2 shown]
	v_mul_f64 v[199:200], v[148:149], s[40:41]
	v_mul_f64 v[211:212], v[148:149], s[16:17]
	v_fma_f64 v[126:127], v[118:119], s[28:29], v[253:254]
	v_add_f64 v[144:145], v[172:173], v[144:145]
	v_mul_f64 v[219:220], v[148:149], s[44:45]
	v_add_f64 v[181:182], v[20:21], v[181:182]
	v_fma_f64 v[130:131], v[118:119], s[6:7], v[187:188]
	v_mul_f64 v[203:204], v[148:149], s[50:51]
	v_add_f64 v[12:13], v[132:133], v[12:13]
	s_clause 0x1
	buffer_load_dword v132, off, s[60:63], 0
	buffer_load_dword v133, off, s[60:63], 0 offset:4
	v_add_f64 v[134:135], v[134:135], v[164:165]
	v_add_f64 v[164:165], v[235:236], v[205:206]
	;; [unrolled: 1-line block ×5, first 2 shown]
	v_fma_f64 v[114:115], v[118:119], s[30:31], v[187:188]
	v_mul_f64 v[148:149], v[148:149], s[48:49]
	v_add_f64 v[99:100], v[160:161], v[120:121]
	v_add_f64 v[120:121], v[189:190], v[122:123]
	;; [unrolled: 1-line block ×3, first 2 shown]
	v_mul_f64 v[201:202], v[150:151], s[24:25]
	v_mul_f64 v[101:102], v[150:151], s[56:57]
	;; [unrolled: 1-line block ×7, first 2 shown]
	v_add_f64 v[181:182], v[24:25], v[181:182]
	v_mul_f64 v[150:151], v[150:151], s[44:45]
	v_add_f64 v[97:98], v[97:98], v[197:198]
	v_add_f64 v[93:94], v[93:94], v[195:196]
	;; [unrolled: 1-line block ×9, first 2 shown]
	v_fma_f64 v[122:123], v[83:84], s[30:31], v[211:212]
	v_add_f64 v[112:113], v[112:113], v[199:200]
	v_add_f64 v[99:100], v[170:171], v[99:100]
	v_fma_f64 v[156:157], v[83:84], s[18:19], v[219:220]
	v_add_f64 v[120:121], v[130:131], v[120:121]
	v_fma_f64 v[152:153], v[83:84], s[36:37], v[203:204]
	v_fma_f64 v[116:117], v[83:84], s[6:7], v[211:212]
	;; [unrolled: 1-line block ×3, first 2 shown]
	v_add_f64 v[80:81], v[114:115], v[80:81]
	v_fma_f64 v[160:161], v[83:84], s[22:23], v[148:149]
	v_fma_f64 v[138:139], v[85:86], s[14:15], v[201:202]
	v_add_f64 v[181:182], v[60:61], v[181:182]
	v_fma_f64 v[166:167], v[85:86], s[46:47], v[201:202]
	v_fma_f64 v[187:188], v[85:86], s[36:37], v[209:210]
	;; [unrolled: 1-line block ×4, first 2 shown]
	v_add_f64 v[89:90], v[89:90], v[215:216]
	v_add_f64 v[126:127], v[126:127], v[140:141]
	;; [unrolled: 1-line block ×18, first 2 shown]
	v_fma_f64 v[181:182], v[118:119], s[4:5], v[253:254]
	v_fma_f64 v[118:119], v[118:119], s[34:35], v[174:175]
	;; [unrolled: 1-line block ×4, first 2 shown]
	v_add_f64 v[78:79], v[64:65], v[78:79]
	v_add_f64 v[134:135], v[181:182], v[134:135]
	v_add_f64 v[76:77], v[118:119], v[76:77]
	v_fma_f64 v[118:119], v[85:86], s[4:5], v[154:155]
	v_add_f64 v[126:127], v[174:175], v[126:127]
	v_add_f64 v[78:79], v[56:57], v[78:79]
	;; [unrolled: 1-line block ×11, first 2 shown]
	s_waitcnt vmcnt(0)
	v_add_f64 v[101:102], v[132:133], v[101:102]
	v_fma_f64 v[132:133], v[85:86], s[20:21], v[150:151]
	v_fma_f64 v[84:85], v[85:86], s[18:19], v[150:151]
	v_add_f64 v[86:87], v[93:94], v[87:88]
	v_add_f64 v[93:94], v[112:113], v[99:100]
	;; [unrolled: 1-line block ×10, first 2 shown]
	v_mul_u32_u24_e32 v84, 0x88, v106
	v_add3_u32 v84, 0, v84, v180
	ds_write2_b64 v84, v[8:9], v[10:11] offset0:12 offset1:13
	ds_write2_b64 v84, v[0:1], v[2:3] offset0:14 offset1:15
	;; [unrolled: 1-line block ×7, first 2 shown]
	ds_write2_b64 v84, v[78:79], v[76:77] offset1:1
	ds_write_b64 v84, v[12:13] offset:128
.LBB0_12:
	s_or_b32 exec_lo, exec_lo, s1
	v_lshlrev_b32_e32 v12, 3, v106
	s_waitcnt lgkmcnt(0)
	s_waitcnt_vscnt null, 0x0
	s_barrier
	buffer_gl0_inv
	v_cmp_gt_u32_e64 s1, 34, v106
	v_add_nc_u32_e32 v107, 0, v12
	v_add3_u32 v176, 0, v180, v12
	v_add_nc_u32_e32 v177, v107, v180
	v_add_nc_u32_e32 v12, 0x400, v177
	;; [unrolled: 1-line block ×5, first 2 shown]
	ds_read2_b64 v[84:87], v177 offset0:68 offset1:136
	ds_read2_b64 v[88:91], v12 offset0:110 offset1:178
	;; [unrolled: 1-line block ×5, first 2 shown]
	ds_read_b64 v[110:111], v176
	ds_read_b64 v[112:113], v177 offset:6800
	s_and_saveexec_b32 s4, s1
	s_cbranch_execz .LBB0_14
; %bb.13:
	v_add_nc_u32_e32 v0, 0x600, v177
	v_add_nc_u32_e32 v1, 0x1500, v177
	ds_read2_b64 v[8:11], v0 offset0:12 offset1:250
	ds_read2_b64 v[0:3], v1 offset0:8 offset1:246
.LBB0_14:
	s_or_b32 exec_lo, exec_lo, s4
	v_add_f64 v[142:143], v[32:33], -v[4:5]
	s_mov_b32 s28, 0x2a9d6da3
	s_mov_b32 s44, 0x7c9e640b
	;; [unrolled: 1-line block ×8, first 2 shown]
	v_add_f64 v[140:141], v[34:35], v[6:7]
	v_add_f64 v[130:131], v[52:53], -v[16:17]
	s_mov_b32 s18, 0x75d4884
	s_mov_b32 s8, 0x2b2883cd
	;; [unrolled: 1-line block ×11, first 2 shown]
	v_mul_f64 v[174:175], v[142:143], s[28:29]
	v_mul_f64 v[172:173], v[142:143], s[44:45]
	;; [unrolled: 1-line block ×4, first 2 shown]
	s_mov_b32 s21, 0xbfc7851a
	s_mov_b32 s37, 0x3fe0d888
	;; [unrolled: 1-line block ×3, first 2 shown]
	v_add_f64 v[128:129], v[54:55], v[18:19]
	v_add_f64 v[124:125], v[72:73], -v[44:45]
	s_mov_b32 s22, 0x6ed5f1bb
	v_mul_f64 v[166:167], v[130:131], s[42:43]
	v_mul_f64 v[164:165], v[130:131], s[40:41]
	;; [unrolled: 1-line block ×4, first 2 shown]
	s_mov_b32 s6, 0x7faef3
	s_mov_b32 s24, 0x910ea3b9
	;; [unrolled: 1-line block ×8, first 2 shown]
	v_fma_f64 v[4:5], v[140:141], s[18:19], v[174:175]
	v_fma_f64 v[12:13], v[140:141], s[8:9], v[172:173]
	;; [unrolled: 1-line block ×4, first 2 shown]
	s_mov_b32 s48, s16
	s_mov_b32 s30, s28
	v_add_f64 v[126:127], v[46:47], v[74:75]
	v_add_f64 v[72:73], v[68:69], -v[40:41]
	v_mul_f64 v[158:159], v[124:125], s[40:41]
	v_mul_f64 v[156:157], v[124:125], s[26:27]
	;; [unrolled: 1-line block ×4, first 2 shown]
	v_fma_f64 v[40:41], v[128:129], s[4:5], v[166:167]
	v_fma_f64 v[44:45], v[128:129], s[22:23], v[164:165]
	;; [unrolled: 1-line block ×4, first 2 shown]
	s_mov_b32 s52, 0x5d8e7cdc
	s_mov_b32 s53, 0x3fd71e95
	v_add_f64 v[114:115], v[42:43], v[70:71]
	v_add_f64 v[52:53], v[20:21], -v[56:57]
	s_mov_b32 s38, 0x370991
	s_mov_b32 s39, 0x3fedd6d0
	v_add_f64 v[4:5], v[4:5], v[14:15]
	v_add_f64 v[12:13], v[12:13], v[14:15]
	;; [unrolled: 1-line block ×5, first 2 shown]
	s_mov_b32 s47, 0xbfd71e95
	s_mov_b32 s27, 0x3fefdd0d
	v_mul_f64 v[150:151], v[72:73], s[20:21]
	v_mul_f64 v[148:149], v[72:73], s[48:49]
	;; [unrolled: 1-line block ×4, first 2 shown]
	v_fma_f64 v[20:21], v[126:127], s[22:23], v[158:159]
	v_fma_f64 v[98:99], v[126:127], s[6:7], v[156:157]
	;; [unrolled: 1-line block ×4, first 2 shown]
	s_mov_b32 s46, s52
	s_mov_b32 s26, s42
	;; [unrolled: 1-line block ×4, first 2 shown]
	v_mul_f64 v[138:139], v[52:53], s[36:37]
	v_mul_f64 v[136:137], v[52:53], s[30:31]
	;; [unrolled: 1-line block ×3, first 2 shown]
	v_add_f64 v[4:5], v[40:41], v[4:5]
	v_add_f64 v[12:13], v[44:45], v[12:13]
	;; [unrolled: 1-line block ×4, first 2 shown]
	v_add_f64 v[40:41], v[24:25], -v[64:65]
	v_mul_f64 v[132:133], v[52:53], s[20:21]
	s_mov_b32 s37, 0xbfe0d888
	v_fma_f64 v[64:65], v[114:115], s[6:7], v[150:151]
	v_fma_f64 v[68:69], v[114:115], s[14:15], v[148:149]
	;; [unrolled: 1-line block ×4, first 2 shown]
	v_add_f64 v[44:45], v[26:27], v[66:67]
	v_add_f64 v[24:25], v[60:61], -v[36:37]
	s_mov_b32 s34, s44
	s_mov_b32 s50, s40
	s_waitcnt lgkmcnt(0)
	s_barrier
	buffer_gl0_inv
	v_fma_f64 v[36:37], v[56:57], s[24:25], v[138:139]
	v_add_f64 v[4:5], v[20:21], v[4:5]
	v_add_f64 v[12:13], v[98:99], v[12:13]
	;; [unrolled: 1-line block ×4, first 2 shown]
	v_mul_f64 v[122:123], v[40:41], s[48:49]
	v_mul_f64 v[118:119], v[40:41], s[46:47]
	;; [unrolled: 1-line block ×4, first 2 shown]
	v_fma_f64 v[98:99], v[56:57], s[18:19], v[136:137]
	v_fma_f64 v[100:101], v[56:57], s[8:9], v[134:135]
	;; [unrolled: 1-line block ×3, first 2 shown]
	v_add_f64 v[32:33], v[38:39], v[62:63]
	v_mul_f64 v[60:61], v[24:25], s[50:51]
	v_add_f64 v[4:5], v[64:65], v[4:5]
	v_add_f64 v[181:182], v[68:69], v[12:13]
	;; [unrolled: 1-line block ×4, first 2 shown]
	v_add_f64 v[12:13], v[48:49], -v[28:29]
	v_mul_f64 v[68:69], v[24:25], s[34:35]
	v_mul_f64 v[64:65], v[24:25], s[42:43]
	;; [unrolled: 1-line block ×3, first 2 shown]
	v_fma_f64 v[96:97], v[44:45], s[14:15], v[122:123]
	v_fma_f64 v[178:179], v[44:45], s[38:39], v[118:119]
	;; [unrolled: 1-line block ×5, first 2 shown]
	v_add_f64 v[187:188], v[36:37], v[4:5]
	v_add_f64 v[98:99], v[98:99], v[181:182]
	;; [unrolled: 1-line block ×5, first 2 shown]
	v_mul_f64 v[36:37], v[12:13], s[52:53]
	v_mul_f64 v[20:21], v[12:13], s[30:31]
	;; [unrolled: 1-line block ×4, first 2 shown]
	v_fma_f64 v[181:182], v[32:33], s[8:9], v[68:69]
	v_fma_f64 v[189:190], v[32:33], s[4:5], v[64:65]
	v_fma_f64 v[193:194], v[32:33], s[38:39], v[48:49]
	v_add_f64 v[96:97], v[96:97], v[187:188]
	v_add_f64 v[98:99], v[178:179], v[98:99]
	;; [unrolled: 1-line block ×4, first 2 shown]
	v_fma_f64 v[178:179], v[4:5], s[38:39], v[36:37]
	v_fma_f64 v[183:184], v[4:5], s[18:19], v[20:21]
	;; [unrolled: 1-line block ×4, first 2 shown]
	v_add_f64 v[96:97], v[181:182], v[96:97]
	v_add_f64 v[98:99], v[189:190], v[98:99]
	;; [unrolled: 1-line block ×8, first 2 shown]
	s_and_saveexec_b32 s33, s0
	s_cbranch_execz .LBB0_16
; %bb.15:
	v_add_f64 v[34:35], v[34:35], v[14:15]
	v_mul_f64 v[187:188], v[72:73], s[36:37]
	v_mul_f64 v[189:190], v[72:73], s[50:51]
	v_mul_f64 v[199:200], v[52:53], s[26:27]
	v_mul_f64 v[201:202], v[52:53], s[46:47]
	v_mul_f64 v[211:212], v[40:41], s[28:29]
	v_mul_f64 v[213:214], v[40:41], s[20:21]
	v_add_f64 v[34:35], v[54:55], v[34:35]
	v_mul_f64 v[54:55], v[142:143], s[20:21]
	v_fma_f64 v[193:194], v[114:115], s[24:25], -v[187:188]
	v_fma_f64 v[187:188], v[114:115], s[24:25], v[187:188]
	v_fma_f64 v[195:196], v[114:115], s[22:23], -v[189:190]
	v_fma_f64 v[189:190], v[114:115], s[22:23], v[189:190]
	;; [unrolled: 2-line block ×6, first 2 shown]
	v_add_f64 v[34:35], v[74:75], v[34:35]
	v_mul_f64 v[74:75], v[128:129], s[6:7]
	v_add_f64 v[34:35], v[70:71], v[34:35]
	v_fma_f64 v[70:71], v[140:141], s[6:7], -v[54:55]
	v_fma_f64 v[54:55], v[140:141], s[6:7], v[54:55]
	v_add_f64 v[74:75], v[74:75], -v[162:163]
	v_mul_f64 v[162:163], v[130:131], s[34:35]
	v_add_f64 v[22:23], v[22:23], v[34:35]
	v_mul_f64 v[34:35], v[140:141], s[4:5]
	v_add_f64 v[70:71], v[70:71], v[14:15]
	v_add_f64 v[54:55], v[54:55], v[14:15]
	;; [unrolled: 1-line block ×3, first 2 shown]
	v_mul_f64 v[26:27], v[140:141], s[18:19]
	v_add_f64 v[34:35], v[34:35], -v[170:171]
	v_add_f64 v[22:23], v[62:63], v[22:23]
	v_add_f64 v[26:27], v[26:27], -v[174:175]
	v_add_f64 v[34:35], v[34:35], v[14:15]
	v_mul_f64 v[174:175], v[124:125], s[42:43]
	v_add_f64 v[22:23], v[50:51], v[22:23]
	v_mul_f64 v[50:51], v[142:143], s[36:37]
	v_add_f64 v[26:27], v[26:27], v[14:15]
	v_fma_f64 v[183:184], v[126:127], s[4:5], -v[174:175]
	v_fma_f64 v[174:175], v[126:127], s[4:5], v[174:175]
	v_add_f64 v[22:23], v[30:31], v[22:23]
	v_mul_f64 v[30:31], v[140:141], s[8:9]
	v_add_f64 v[22:23], v[38:39], v[22:23]
	v_mul_f64 v[38:39], v[140:141], s[14:15]
	v_add_f64 v[30:31], v[30:31], -v[172:173]
	v_mul_f64 v[172:173], v[124:125], s[46:47]
	v_add_f64 v[22:23], v[66:67], v[22:23]
	v_add_f64 v[38:39], v[38:39], -v[168:169]
	v_fma_f64 v[66:67], v[140:141], s[24:25], -v[50:51]
	v_fma_f64 v[50:51], v[140:141], s[24:25], v[50:51]
	v_add_f64 v[30:31], v[30:31], v[14:15]
	v_fma_f64 v[168:169], v[128:129], s[8:9], -v[162:163]
	v_fma_f64 v[162:163], v[128:129], s[8:9], v[162:163]
	v_fma_f64 v[181:182], v[126:127], s[38:39], -v[172:173]
	v_fma_f64 v[172:173], v[126:127], s[38:39], v[172:173]
	v_add_f64 v[22:23], v[58:59], v[22:23]
	v_add_f64 v[38:39], v[38:39], v[14:15]
	;; [unrolled: 1-line block ×5, first 2 shown]
	v_mul_f64 v[42:43], v[142:143], s[46:47]
	v_add_f64 v[50:51], v[162:163], v[50:51]
	v_add_f64 v[22:23], v[46:47], v[22:23]
	v_mul_f64 v[46:47], v[142:143], s[40:41]
	v_fma_f64 v[58:59], v[140:141], s[38:39], -v[42:43]
	v_fma_f64 v[42:43], v[140:141], s[38:39], v[42:43]
	v_mul_f64 v[142:143], v[130:131], s[28:29]
	v_add_f64 v[50:51], v[174:175], v[50:51]
	v_fma_f64 v[62:63], v[140:141], s[22:23], -v[46:47]
	v_fma_f64 v[46:47], v[140:141], s[22:23], v[46:47]
	v_mul_f64 v[140:141], v[128:129], s[24:25]
	v_add_f64 v[58:59], v[58:59], v[14:15]
	v_add_f64 v[42:43], v[42:43], v[14:15]
	;; [unrolled: 1-line block ×6, first 2 shown]
	v_mul_f64 v[18:19], v[128:129], s[4:5]
	v_mul_f64 v[22:23], v[128:129], s[22:23]
	v_add_f64 v[140:141], v[140:141], -v[160:161]
	v_mul_f64 v[160:161], v[130:131], s[48:49]
	v_mul_f64 v[130:131], v[130:131], s[52:53]
	v_add_f64 v[50:51], v[201:202], v[50:51]
	v_add_f64 v[6:7], v[6:7], v[14:15]
	v_add_f64 v[18:19], v[18:19], -v[166:167]
	v_add_f64 v[22:23], v[22:23], -v[164:165]
	v_fma_f64 v[164:165], v[128:129], s[18:19], -v[142:143]
	v_fma_f64 v[142:143], v[128:129], s[18:19], v[142:143]
	v_fma_f64 v[166:167], v[128:129], s[14:15], -v[160:161]
	v_fma_f64 v[160:161], v[128:129], s[14:15], v[160:161]
	;; [unrolled: 2-line block ×3, first 2 shown]
	v_mul_f64 v[130:131], v[126:127], s[22:23]
	v_add_f64 v[50:51], v[213:214], v[50:51]
	v_add_f64 v[18:19], v[18:19], v[26:27]
	v_add_f64 v[22:23], v[22:23], v[30:31]
	v_add_f64 v[30:31], v[140:141], v[38:39]
	v_add_f64 v[26:27], v[74:75], v[34:35]
	v_add_f64 v[34:35], v[166:167], v[62:63]
	v_add_f64 v[38:39], v[160:161], v[46:47]
	v_add_f64 v[46:47], v[168:169], v[66:67]
	v_add_f64 v[54:55], v[128:129], v[54:55]
	v_add_f64 v[130:131], v[130:131], -v[158:159]
	v_mul_f64 v[158:159], v[126:127], s[6:7]
	v_add_f64 v[62:63], v[170:171], v[70:71]
	v_mul_f64 v[66:67], v[24:25], s[36:37]
	v_mul_f64 v[70:71], v[24:25], s[30:31]
	v_add_f64 v[58:59], v[164:165], v[58:59]
	v_add_f64 v[34:35], v[181:182], v[34:35]
	;; [unrolled: 1-line block ×5, first 2 shown]
	v_add_f64 v[156:157], v[158:159], -v[156:157]
	v_mul_f64 v[158:159], v[126:127], s[14:15]
	v_fma_f64 v[74:75], v[32:33], s[24:25], -v[66:67]
	v_fma_f64 v[66:67], v[32:33], s[24:25], v[66:67]
	v_fma_f64 v[140:141], v[32:33], s[18:19], -v[70:71]
	v_fma_f64 v[70:71], v[32:33], s[18:19], v[70:71]
	v_add_f64 v[34:35], v[193:194], v[34:35]
	v_add_f64 v[38:39], v[187:188], v[38:39]
	;; [unrolled: 1-line block ×4, first 2 shown]
	v_add_f64 v[154:155], v[158:159], -v[154:155]
	v_mul_f64 v[158:159], v[126:127], s[18:19]
	v_add_f64 v[34:35], v[205:206], v[34:35]
	v_add_f64 v[38:39], v[199:200], v[38:39]
	;; [unrolled: 1-line block ×4, first 2 shown]
	v_add_f64 v[152:153], v[158:159], -v[152:153]
	v_mul_f64 v[158:159], v[124:125], s[44:45]
	v_mul_f64 v[124:125], v[124:125], s[36:37]
	v_add_f64 v[34:35], v[217:218], v[34:35]
	v_add_f64 v[38:39], v[211:212], v[38:39]
	;; [unrolled: 1-line block ×4, first 2 shown]
	v_fma_f64 v[178:179], v[126:127], s[8:9], -v[158:159]
	v_fma_f64 v[158:159], v[126:127], s[8:9], v[158:159]
	v_fma_f64 v[185:186], v[126:127], s[24:25], -v[124:125]
	v_fma_f64 v[124:125], v[126:127], s[24:25], v[124:125]
	v_mul_f64 v[126:127], v[114:115], s[6:7]
	v_add_f64 v[54:55], v[124:125], v[54:55]
	v_add_f64 v[126:127], v[126:127], -v[150:151]
	v_mul_f64 v[150:151], v[114:115], s[14:15]
	v_add_f64 v[18:19], v[126:127], v[18:19]
	v_add_f64 v[148:149], v[150:151], -v[148:149]
	;; [unrolled: 3-line block ×4, first 2 shown]
	v_mul_f64 v[150:151], v[72:73], s[42:43]
	v_mul_f64 v[72:73], v[72:73], s[30:31]
	v_add_f64 v[30:31], v[144:145], v[30:31]
	v_fma_f64 v[191:192], v[114:115], s[4:5], -v[150:151]
	v_fma_f64 v[150:151], v[114:115], s[4:5], v[150:151]
	v_fma_f64 v[197:198], v[114:115], s[18:19], -v[72:73]
	v_fma_f64 v[72:73], v[114:115], s[18:19], v[72:73]
	v_mul_f64 v[114:115], v[56:57], s[24:25]
	v_add_f64 v[54:55], v[72:73], v[54:55]
	v_add_f64 v[114:115], v[114:115], -v[138:139]
	v_mul_f64 v[138:139], v[56:57], s[18:19]
	v_add_f64 v[18:19], v[114:115], v[18:19]
	v_add_f64 v[136:137], v[138:139], -v[136:137]
	v_mul_f64 v[138:139], v[56:57], s[8:9]
	v_add_f64 v[22:23], v[136:137], v[22:23]
	v_add_f64 v[134:135], v[138:139], -v[134:135]
	v_mul_f64 v[138:139], v[56:57], s[6:7]
	v_add_f64 v[26:27], v[134:135], v[26:27]
	v_add_f64 v[132:133], v[138:139], -v[132:133]
	v_mul_f64 v[138:139], v[52:53], s[16:17]
	v_mul_f64 v[52:53], v[52:53], s[40:41]
	v_add_f64 v[30:31], v[132:133], v[30:31]
	v_fma_f64 v[203:204], v[56:57], s[14:15], -v[138:139]
	v_fma_f64 v[138:139], v[56:57], s[14:15], v[138:139]
	v_fma_f64 v[209:210], v[56:57], s[22:23], -v[52:53]
	v_fma_f64 v[52:53], v[56:57], s[22:23], v[52:53]
	v_mul_f64 v[56:57], v[44:45], s[14:15]
	v_add_f64 v[52:53], v[52:53], v[54:55]
	v_add_f64 v[56:57], v[56:57], -v[122:123]
	v_mul_f64 v[122:123], v[44:45], s[38:39]
	v_mul_f64 v[54:55], v[4:5], s[18:19]
	v_add_f64 v[18:19], v[56:57], v[18:19]
	v_add_f64 v[118:119], v[122:123], -v[118:119]
	v_mul_f64 v[122:123], v[44:45], s[24:25]
	v_add_f64 v[20:21], v[54:55], -v[20:21]
	v_add_f64 v[22:23], v[118:119], v[22:23]
	v_add_f64 v[120:121], v[122:123], -v[120:121]
	v_mul_f64 v[122:123], v[44:45], s[4:5]
	v_add_f64 v[26:27], v[120:121], v[26:27]
	v_add_f64 v[116:117], v[122:123], -v[116:117]
	v_mul_f64 v[122:123], v[40:41], s[40:41]
	v_mul_f64 v[40:41], v[40:41], s[34:35]
	v_add_f64 v[30:31], v[116:117], v[30:31]
	v_fma_f64 v[215:216], v[44:45], s[22:23], -v[122:123]
	v_fma_f64 v[122:123], v[44:45], s[22:23], v[122:123]
	v_fma_f64 v[221:222], v[44:45], s[8:9], -v[40:41]
	v_fma_f64 v[40:41], v[44:45], s[8:9], v[40:41]
	v_mul_f64 v[44:45], v[32:33], s[8:9]
	v_add_f64 v[40:41], v[40:41], v[52:53]
	v_add_f64 v[44:45], v[44:45], -v[68:69]
	v_mul_f64 v[68:69], v[32:33], s[4:5]
	v_mul_f64 v[52:53], v[4:5], s[22:23]
	v_add_f64 v[18:19], v[44:45], v[18:19]
	v_add_f64 v[64:65], v[68:69], -v[64:65]
	v_mul_f64 v[68:69], v[32:33], s[22:23]
	v_add_f64 v[44:45], v[140:141], v[46:47]
	v_add_f64 v[46:47], v[70:71], v[50:51]
	v_mul_f64 v[50:51], v[12:13], s[34:35]
	v_add_f64 v[16:17], v[52:53], -v[16:17]
	v_mul_f64 v[52:53], v[12:13], s[26:27]
	v_add_f64 v[22:23], v[64:65], v[22:23]
	v_add_f64 v[60:61], v[68:69], -v[60:61]
	v_mul_f64 v[68:69], v[32:33], s[38:39]
	v_add_f64 v[26:27], v[60:61], v[26:27]
	v_add_f64 v[48:49], v[68:69], -v[48:49]
	v_mul_f64 v[68:69], v[24:25], s[20:21]
	v_mul_f64 v[24:25], v[24:25], s[16:17]
	v_add_f64 v[20:21], v[20:21], v[26:27]
	v_add_f64 v[30:31], v[48:49], v[30:31]
	v_fma_f64 v[128:129], v[32:33], s[6:7], -v[68:69]
	v_fma_f64 v[68:69], v[32:33], s[6:7], v[68:69]
	v_fma_f64 v[160:161], v[32:33], s[14:15], -v[24:25]
	v_fma_f64 v[24:25], v[32:33], s[14:15], v[24:25]
	v_add_f64 v[32:33], v[142:143], v[42:43]
	v_add_f64 v[42:43], v[178:179], v[58:59]
	;; [unrolled: 1-line block ×3, first 2 shown]
	v_mul_f64 v[62:63], v[4:5], s[38:39]
	v_add_f64 v[16:17], v[16:17], v[30:31]
	v_add_f64 v[34:35], v[128:129], v[34:35]
	;; [unrolled: 1-line block ×7, first 2 shown]
	v_add_f64 v[36:37], v[62:63], -v[36:37]
	v_mul_f64 v[62:63], v[4:5], s[24:25]
	v_mul_f64 v[40:41], v[12:13], s[16:17]
	;; [unrolled: 1-line block ×3, first 2 shown]
	v_add_f64 v[32:33], v[150:151], v[32:33]
	v_add_f64 v[42:43], v[203:204], v[42:43]
	;; [unrolled: 1-line block ×4, first 2 shown]
	v_add_f64 v[28:29], v[62:63], -v[28:29]
	v_fma_f64 v[56:57], v[4:5], s[14:15], -v[40:41]
	v_fma_f64 v[40:41], v[4:5], s[14:15], v[40:41]
	v_fma_f64 v[60:61], v[4:5], s[6:7], -v[12:13]
	v_add_f64 v[32:33], v[138:139], v[32:33]
	v_add_f64 v[42:43], v[215:216], v[42:43]
	;; [unrolled: 1-line block ×3, first 2 shown]
	v_fma_f64 v[58:59], v[4:5], s[4:5], -v[52:53]
	v_fma_f64 v[52:53], v[4:5], s[4:5], v[52:53]
	v_add_f64 v[22:23], v[28:29], v[22:23]
	v_add_f64 v[30:31], v[56:57], v[44:45]
	;; [unrolled: 1-line block ×6, first 2 shown]
	v_fma_f64 v[54:55], v[4:5], s[8:9], -v[50:51]
	v_fma_f64 v[50:51], v[4:5], s[8:9], v[50:51]
	v_fma_f64 v[4:5], v[4:5], s[6:7], v[12:13]
	v_add_f64 v[24:25], v[52:53], v[24:25]
	v_add_f64 v[12:13], v[66:67], v[32:33]
	;; [unrolled: 1-line block ×7, first 2 shown]
	v_lshlrev_b32_e32 v12, 7, v106
	v_add3_u32 v12, v107, v12, v180
	ds_write2_b64 v12, v[96:97], v[98:99] offset0:12 offset1:13
	ds_write2_b64 v12, v[100:101], v[102:103] offset0:14 offset1:15
	;; [unrolled: 1-line block ×7, first 2 shown]
	ds_write2_b64 v12, v[6:7], v[32:33] offset1:1
	ds_write_b64 v12, v[4:5] offset:128
.LBB0_16:
	s_or_b32 exec_lo, exec_lo, s33
	v_add_nc_u32_e32 v4, 0x400, v177
	v_add_nc_u32_e32 v5, 0x800, v177
	;; [unrolled: 1-line block ×4, first 2 shown]
	s_waitcnt lgkmcnt(0)
	s_barrier
	buffer_gl0_inv
	ds_read2_b64 v[32:35], v4 offset0:110 offset1:178
	ds_read2_b64 v[12:15], v5 offset0:118 offset1:220
	;; [unrolled: 1-line block ×5, first 2 shown]
	ds_read_b64 v[44:45], v176
	ds_read_b64 v[46:47], v177 offset:6800
	s_and_saveexec_b32 s0, s1
	s_cbranch_execz .LBB0_18
; %bb.17:
	v_add_nc_u32_e32 v20, 0x600, v177
	v_add_nc_u32_e32 v21, 0x1500, v177
	ds_read2_b64 v[96:99], v20 offset0:12 offset1:250
	ds_read2_b64 v[100:103], v21 offset0:8 offset1:246
.LBB0_18:
	s_or_b32 exec_lo, exec_lo, s0
	v_add_nc_u32_e32 v60, 0x44, v106
	v_and_b32_e32 v20, 0xff, v106
	v_add_nc_u16 v61, v106, 0x88
	v_mov_b32_e32 v65, 3
	v_add_nc_u32_e32 v62, 0xcc, v106
	v_and_b32_e32 v21, 0xff, v60
	v_mul_lo_u16 v20, 0xf1, v20
	v_and_b32_e32 v63, 0xff, v61
	v_mul_lo_u16 v21, 0xf1, v21
	v_lshrrev_b16 v107, 12, v20
	v_mul_lo_u16 v20, 0xf1, v63
	v_lshrrev_b16 v142, 12, v21
	;; [unrolled: 2-line block ×3, first 2 shown]
	v_and_b32_e32 v107, 0xffff, v107
	v_mul_lo_u16 v20, v142, 17
	v_sub_nc_u16 v144, v106, v21
	v_mul_lo_u16 v21, v143, 17
	v_sub_nc_u16 v145, v60, v20
	v_mul_u32_u24_sdwa v20, v144, v65 dst_sel:DWORD dst_unused:UNUSED_PAD src0_sel:BYTE_0 src1_sel:DWORD
	v_sub_nc_u16 v146, v61, v21
	v_mul_u32_u24_sdwa v21, v145, v65 dst_sel:DWORD dst_unused:UNUSED_PAD src0_sel:BYTE_0 src1_sel:DWORD
	v_lshlrev_b32_e32 v20, 4, v20
	v_mul_u32_u24_sdwa v22, v146, v65 dst_sel:DWORD dst_unused:UNUSED_PAD src0_sel:BYTE_0 src1_sel:DWORD
	s_clause 0x1
	global_load_dwordx4 v[24:27], v20, s[12:13] offset:16
	global_load_dwordx4 v[48:51], v20, s[12:13]
	v_lshlrev_b32_e32 v21, 4, v21
	v_lshlrev_b32_e32 v22, 4, v22
	s_clause 0x6
	global_load_dwordx4 v[52:55], v20, s[12:13] offset:32
	global_load_dwordx4 v[56:59], v21, s[12:13]
	global_load_dwordx4 v[28:31], v21, s[12:13] offset:16
	global_load_dwordx4 v[66:69], v21, s[12:13] offset:32
	global_load_dwordx4 v[70:73], v22, s[12:13]
	global_load_dwordx4 v[40:43], v22, s[12:13] offset:16
	global_load_dwordx4 v[114:117], v22, s[12:13] offset:32
	v_mov_b32_e32 v20, 0xf0f1
	v_mul_u32_u24_sdwa v20, v62, v20 dst_sel:DWORD dst_unused:UNUSED_PAD src0_sel:WORD_0 src1_sel:DWORD
	v_lshrrev_b32_e32 v20, 20, v20
	v_mul_lo_u16 v20, v20, 17
	v_sub_nc_u16 v64, v62, v20
	v_mul_u32_u24_sdwa v20, v64, v65 dst_sel:DWORD dst_unused:UNUSED_PAD src0_sel:WORD_0 src1_sel:DWORD
	v_lshlrev_b32_e32 v20, 4, v20
	s_clause 0x2
	global_load_dwordx4 v[118:121], v20, s[12:13] offset:32
	global_load_dwordx4 v[122:125], v20, s[12:13]
	global_load_dwordx4 v[20:23], v20, s[12:13] offset:16
	s_load_dwordx2 s[2:3], s[2:3], 0x0
	s_waitcnt vmcnt(0) lgkmcnt(0)
	s_barrier
	buffer_gl0_inv
	v_mul_f64 v[128:129], v[36:37], v[54:55]
	v_mul_f64 v[74:75], v[32:33], v[50:51]
	;; [unrolled: 1-line block ×15, first 2 shown]
	v_fma_f64 v[92:93], v[92:93], v[52:53], v[128:129]
	v_fma_f64 v[74:75], v[88:89], v[48:49], v[74:75]
	;; [unrolled: 1-line block ×9, first 2 shown]
	v_fma_f64 v[32:33], v[32:33], v[48:49], -v[50:51]
	v_fma_f64 v[36:37], v[36:37], v[52:53], -v[54:55]
	;; [unrolled: 1-line block ×6, first 2 shown]
	v_mul_f64 v[72:73], v[102:103], v[120:121]
	v_add_f64 v[38:39], v[74:75], -v[92:93]
	v_add_f64 v[66:67], v[110:111], -v[88:89]
	v_mul_f64 v[88:89], v[2:3], v[120:121]
	v_add_f64 v[68:69], v[84:85], -v[126:127]
	v_add_f64 v[46:47], v[90:91], -v[94:95]
	;; [unrolled: 1-line block ×4, first 2 shown]
	v_and_b32_e32 v112, 0xffff, v142
	v_add_f64 v[56:57], v[32:33], -v[36:37]
	v_and_b32_e32 v113, 0xffff, v143
	v_add_f64 v[58:59], v[34:35], -v[48:49]
	v_add_f64 v[54:55], v[12:13], -v[52:53]
	v_fma_f64 v[72:73], v[2:3], v[118:119], v[72:73]
	v_fma_f64 v[36:37], v[74:75], 2.0, -v[38:39]
	v_fma_f64 v[48:49], v[110:111], 2.0, -v[66:67]
	v_fma_f64 v[88:89], v[102:103], v[118:119], -v[88:89]
	v_fma_f64 v[52:53], v[84:85], 2.0, -v[68:69]
	v_fma_f64 v[74:75], v[90:91], 2.0, -v[46:47]
	;; [unrolled: 1-line block ×3, first 2 shown]
	v_mul_f64 v[86:87], v[98:99], v[124:125]
	v_mul_f64 v[90:91], v[10:11], v[124:125]
	v_fma_f64 v[80:81], v[80:81], 2.0, -v[50:51]
	v_add_f64 v[92:93], v[66:67], v[56:57]
	v_add_f64 v[94:95], v[68:69], v[58:59]
	;; [unrolled: 1-line block ×3, first 2 shown]
	v_add_f64 v[102:103], v[48:49], -v[36:37]
	v_add_f64 v[74:75], v[52:53], -v[74:75]
	v_fma_f64 v[2:3], v[10:11], v[122:123], v[86:87]
	v_fma_f64 v[36:37], v[98:99], v[122:123], -v[90:91]
	v_add_f64 v[80:81], v[84:85], -v[80:81]
	v_fma_f64 v[10:11], v[66:67], 2.0, -v[92:93]
	v_mad_u32_u24 v67, 0x220, v107, 0
	v_fma_f64 v[86:87], v[68:69], 2.0, -v[94:95]
	v_lshlrev_b32_sdwa v68, v65, v144 dst_sel:DWORD dst_unused:UNUSED_PAD src0_sel:DWORD src1_sel:BYTE_0
	v_fma_f64 v[70:71], v[70:71], 2.0, -v[110:111]
	v_and_b32_e32 v66, 0xff, v62
	v_add3_u32 v69, v67, v68, v180
	v_fma_f64 v[90:91], v[48:49], 2.0, -v[102:103]
	v_fma_f64 v[98:99], v[52:53], 2.0, -v[74:75]
	v_add_f64 v[48:49], v[2:3], -v[72:73]
	v_add_f64 v[52:53], v[36:37], -v[88:89]
	v_fma_f64 v[84:85], v[84:85], 2.0, -v[80:81]
	v_mad_u32_u24 v72, 0x220, v112, 0
	v_mad_u32_u24 v73, 0x220, v113, 0
	v_lshlrev_b32_sdwa v88, v65, v145 dst_sel:DWORD dst_unused:UNUSED_PAD src0_sel:DWORD src1_sel:BYTE_0
	v_lshlrev_b32_sdwa v89, v65, v146 dst_sel:DWORD dst_unused:UNUSED_PAD src0_sel:DWORD src1_sel:BYTE_0
	v_add3_u32 v68, v72, v88, v180
	v_add3_u32 v67, v73, v89, v180
	ds_write2_b64 v69, v[102:103], v[92:93] offset0:34 offset1:51
	ds_write2_b64 v69, v[90:91], v[10:11] offset1:17
	ds_write2_b64 v68, v[74:75], v[94:95] offset0:34 offset1:51
	ds_write2_b64 v68, v[98:99], v[86:87] offset1:17
	ds_write2_b64 v67, v[84:85], v[70:71] offset1:17
	ds_write2_b64 v67, v[80:81], v[110:111] offset0:34 offset1:51
	s_and_saveexec_b32 s0, s1
	s_cbranch_execz .LBB0_20
; %bb.19:
	v_mul_f64 v[10:11], v[100:101], v[22:23]
	v_fma_f64 v[2:3], v[2:3], 2.0, -v[48:49]
	v_mul_lo_u16 v72, 0xf1, v66
	v_lshlrev_b32_sdwa v65, v65, v64 dst_sel:DWORD dst_unused:UNUSED_PAD src0_sel:DWORD src1_sel:WORD_0
	v_lshrrev_b16 v72, 12, v72
	v_and_b32_e32 v72, 0xffff, v72
	v_mad_u32_u24 v72, 0x220, v72, 0
	v_add3_u32 v65, v72, v65, v180
	v_fma_f64 v[10:11], v[0:1], v[20:21], v[10:11]
	v_add_f64 v[10:11], v[8:9], -v[10:11]
	v_fma_f64 v[8:9], v[8:9], 2.0, -v[10:11]
	v_add_f64 v[70:71], v[10:11], v[52:53]
	v_add_f64 v[2:3], v[8:9], -v[2:3]
	v_fma_f64 v[10:11], v[10:11], 2.0, -v[70:71]
	v_fma_f64 v[8:9], v[8:9], 2.0, -v[2:3]
	ds_write2_b64 v65, v[8:9], v[10:11] offset1:17
	ds_write2_b64 v65, v[2:3], v[70:71] offset0:34 offset1:51
.LBB0_20:
	s_or_b32 exec_lo, exec_lo, s0
	v_mul_f64 v[2:3], v[82:83], v[26:27]
	v_mul_f64 v[8:9], v[76:77], v[30:31]
	;; [unrolled: 1-line block ×3, first 2 shown]
	v_add_nc_u32_e32 v42, 0x800, v177
	s_waitcnt lgkmcnt(0)
	s_barrier
	buffer_gl0_inv
	v_fma_f64 v[2:3], v[14:15], v[24:25], -v[2:3]
	v_fma_f64 v[8:9], v[16:17], v[28:29], -v[8:9]
	;; [unrolled: 1-line block ×3, first 2 shown]
	v_fma_f64 v[14:15], v[34:35], 2.0, -v[58:59]
	v_add_nc_u32_e32 v41, 0x400, v177
	v_add_nc_u32_e32 v40, 0x1400, v177
	v_add_f64 v[24:25], v[44:45], -v[2:3]
	v_add_f64 v[8:9], v[4:5], -v[8:9]
	;; [unrolled: 1-line block ×3, first 2 shown]
	v_fma_f64 v[2:3], v[32:33], 2.0, -v[56:57]
	v_fma_f64 v[26:27], v[44:45], 2.0, -v[24:25]
	v_fma_f64 v[28:29], v[4:5], 2.0, -v[8:9]
	v_fma_f64 v[4:5], v[12:13], 2.0, -v[54:55]
	v_fma_f64 v[6:7], v[6:7], 2.0, -v[10:11]
	v_add_f64 v[32:33], v[24:25], -v[38:39]
	v_add_f64 v[43:44], v[8:9], -v[46:47]
	;; [unrolled: 1-line block ×3, first 2 shown]
	v_add_nc_u32_e32 v39, 0x1000, v177
	v_add_nc_u32_e32 v38, 0xc00, v177
	v_add_f64 v[45:46], v[26:27], -v[2:3]
	v_add_f64 v[54:55], v[28:29], -v[14:15]
	;; [unrolled: 1-line block ×3, first 2 shown]
	ds_read2_b64 v[2:5], v177 offset0:68 offset1:136
	ds_read_b64 v[18:19], v176
	ds_read_b64 v[34:35], v177 offset:7072
	ds_read2_b64 v[14:17], v38 offset0:92 offset1:160
	v_fma_f64 v[58:59], v[24:25], 2.0, -v[32:33]
	v_fma_f64 v[70:71], v[8:9], 2.0, -v[43:44]
	;; [unrolled: 1-line block ×6, first 2 shown]
	ds_read2_b64 v[24:27], v39 offset0:100 offset1:168
	ds_read2_b64 v[6:9], v41 offset0:76 offset1:144
	;; [unrolled: 1-line block ×4, first 2 shown]
	s_waitcnt lgkmcnt(0)
	s_barrier
	buffer_gl0_inv
	ds_write2_b64 v69, v[45:46], v[32:33] offset0:34 offset1:51
	ds_write2_b64 v69, v[72:73], v[58:59] offset1:17
	ds_write2_b64 v68, v[74:75], v[70:71] offset1:17
	ds_write2_b64 v68, v[54:55], v[43:44] offset0:34 offset1:51
	ds_write2_b64 v67, v[78:79], v[76:77] offset1:17
	ds_write2_b64 v67, v[56:57], v[50:51] offset0:34 offset1:51
	s_and_saveexec_b32 s0, s1
	s_cbranch_execz .LBB0_22
; %bb.21:
	v_mul_f64 v[0:1], v[0:1], v[22:23]
	v_fma_f64 v[0:1], v[100:101], v[20:21], -v[0:1]
	v_fma_f64 v[20:21], v[36:37], 2.0, -v[52:53]
	v_mul_lo_u16 v36, 0xf1, v66
	v_mov_b32_e32 v37, 3
	v_lshrrev_b16 v36, 12, v36
	v_lshlrev_b32_sdwa v37, v37, v64 dst_sel:DWORD dst_unused:UNUSED_PAD src0_sel:DWORD src1_sel:WORD_0
	v_and_b32_e32 v36, 0xffff, v36
	v_mad_u32_u24 v36, 0x220, v36, 0
	v_add3_u32 v36, v36, v37, v180
	v_add_f64 v[0:1], v[96:97], -v[0:1]
	v_fma_f64 v[22:23], v[96:97], 2.0, -v[0:1]
	v_add_f64 v[32:33], v[0:1], -v[48:49]
	v_add_f64 v[20:21], v[22:23], -v[20:21]
	v_fma_f64 v[0:1], v[0:1], 2.0, -v[32:33]
	v_fma_f64 v[22:23], v[22:23], 2.0, -v[20:21]
	ds_write2_b64 v36, v[22:23], v[0:1] offset1:17
	ds_write2_b64 v36, v[20:21], v[32:33] offset0:34 offset1:51
.LBB0_22:
	s_or_b32 exec_lo, exec_lo, s0
	v_mul_lo_u16 v0, 0x79, v63
	v_mov_b32_e32 v36, 0xf0f1
	v_add_nc_u32_e32 v20, 0x110, v106
	v_add_nc_u32_e32 v21, 0x154, v106
	;; [unrolled: 1-line block ×3, first 2 shown]
	v_lshrrev_b16 v23, 13, v0
	v_mov_b32_e32 v107, 0
	v_mul_u32_u24_sdwa v37, v62, v36 dst_sel:DWORD dst_unused:UNUSED_PAD src0_sel:WORD_0 src1_sel:DWORD
	v_mul_u32_u24_sdwa v43, v20, v36 dst_sel:DWORD dst_unused:UNUSED_PAD src0_sel:WORD_0 src1_sel:DWORD
	;; [unrolled: 1-line block ×3, first 2 shown]
	v_mul_lo_u16 v23, 0x44, v23
	v_mul_u32_u24_sdwa v36, v22, v36 dst_sel:DWORD dst_unused:UNUSED_PAD src0_sel:WORD_0 src1_sel:DWORD
	v_lshlrev_b64 v[32:33], 4, v[106:107]
	v_lshrrev_b32_e32 v37, 22, v37
	v_lshrrev_b32_e32 v43, 22, v43
	;; [unrolled: 1-line block ×3, first 2 shown]
	v_sub_nc_u16 v59, v61, v23
	v_lshrrev_b32_e32 v23, 22, v36
	v_mul_lo_u16 v36, 0x44, v37
	v_add_co_u32 v0, s0, s12, v32
	v_mul_lo_u16 v37, 0x44, v43
	v_mul_lo_u16 v43, 0x44, v44
	v_add_co_ci_u32_e64 v1, s0, s13, v33, s0
	v_mul_lo_u16 v23, 0x44, v23
	v_mov_b32_e32 v44, 4
	v_sub_nc_u16 v93, v62, v36
	v_sub_nc_u16 v94, v20, v37
	;; [unrolled: 1-line block ×3, first 2 shown]
	s_waitcnt lgkmcnt(0)
	s_barrier
	buffer_gl0_inv
	v_sub_nc_u16 v96, v22, v23
	global_load_dwordx4 v[20:23], v[0:1], off offset:816
	v_lshlrev_b32_sdwa v36, v44, v59 dst_sel:DWORD dst_unused:UNUSED_PAD src0_sel:DWORD src1_sel:BYTE_0
	v_lshlrev_b32_sdwa v37, v44, v93 dst_sel:DWORD dst_unused:UNUSED_PAD src0_sel:DWORD src1_sel:WORD_0
	v_lshlrev_b32_sdwa v51, v44, v94 dst_sel:DWORD dst_unused:UNUSED_PAD src0_sel:DWORD src1_sel:WORD_0
	;; [unrolled: 1-line block ×4, first 2 shown]
	s_clause 0x4
	global_load_dwordx4 v[43:46], v36, s[12:13] offset:816
	global_load_dwordx4 v[47:50], v37, s[12:13] offset:816
	;; [unrolled: 1-line block ×5, first 2 shown]
	ds_read2_b64 v[65:68], v38 offset0:92 offset1:160
	ds_read2_b64 v[69:72], v39 offset0:100 offset1:168
	;; [unrolled: 1-line block ×3, first 2 shown]
	ds_read_b64 v[0:1], v177 offset:7072
	v_mov_b32_e32 v97, 3
	v_lshlrev_b32_sdwa v59, v97, v59 dst_sel:DWORD dst_unused:UNUSED_PAD src0_sel:DWORD src1_sel:BYTE_0
	v_add3_u32 v59, 0, v59, v180
	v_add_nc_u32_e32 v59, 0x800, v59
	s_waitcnt vmcnt(5) lgkmcnt(3)
	v_mul_f64 v[36:37], v[65:66], v[22:23]
	v_mul_f64 v[77:78], v[67:68], v[22:23]
	s_waitcnt vmcnt(4) lgkmcnt(2)
	v_mul_f64 v[79:80], v[69:70], v[45:46]
	s_waitcnt vmcnt(3)
	v_mul_f64 v[81:82], v[71:72], v[49:50]
	s_waitcnt vmcnt(2) lgkmcnt(1)
	v_mul_f64 v[83:84], v[73:74], v[53:54]
	s_waitcnt vmcnt(1)
	v_mul_f64 v[85:86], v[75:76], v[57:58]
	s_waitcnt vmcnt(0) lgkmcnt(0)
	v_mul_f64 v[87:88], v[0:1], v[63:64]
	v_mul_f64 v[89:90], v[14:15], v[22:23]
	;; [unrolled: 1-line block ×8, first 2 shown]
	v_fma_f64 v[36:37], v[14:15], v[20:21], v[36:37]
	v_fma_f64 v[77:78], v[16:17], v[20:21], v[77:78]
	;; [unrolled: 1-line block ×7, first 2 shown]
	v_fma_f64 v[65:66], v[65:66], v[20:21], -v[89:90]
	v_fma_f64 v[20:21], v[67:68], v[20:21], -v[91:92]
	;; [unrolled: 1-line block ×7, first 2 shown]
	ds_read_b64 v[85:86], v176
	ds_read2_b64 v[14:17], v177 offset0:68 offset1:136
	ds_read2_b64 v[22:25], v41 offset0:76 offset1:144
	;; [unrolled: 1-line block ×3, first 2 shown]
	v_lshlrev_b32_sdwa v61, v97, v93 dst_sel:DWORD dst_unused:UNUSED_PAD src0_sel:DWORD src1_sel:WORD_0
	v_lshlrev_b32_sdwa v67, v97, v94 dst_sel:DWORD dst_unused:UNUSED_PAD src0_sel:DWORD src1_sel:WORD_0
	;; [unrolled: 1-line block ×4, first 2 shown]
	s_waitcnt lgkmcnt(0)
	v_add3_u32 v70, 0, v61, v180
	s_barrier
	v_add_f64 v[36:37], v[18:19], -v[36:37]
	v_add_f64 v[51:52], v[2:3], -v[77:78]
	;; [unrolled: 1-line block ×7, first 2 shown]
	v_add_nc_u32_e32 v79, 0x800, v70
	buffer_gl0_inv
	v_add_f64 v[61:62], v[85:86], -v[65:66]
	v_add_f64 v[63:64], v[14:15], -v[20:21]
	;; [unrolled: 1-line block ×7, first 2 shown]
	v_add3_u32 v20, 0, v69, v180
	v_add_nc_u32_e32 v82, 0x1800, v20
	v_fma_f64 v[0:1], v[18:19], 2.0, -v[36:37]
	v_fma_f64 v[2:3], v[2:3], 2.0, -v[51:52]
	;; [unrolled: 1-line block ×7, first 2 shown]
	v_add3_u32 v18, 0, v67, v180
	v_add3_u32 v19, 0, v68, v180
	v_fma_f64 v[67:68], v[85:86], 2.0, -v[61:62]
	v_fma_f64 v[69:70], v[14:15], 2.0, -v[63:64]
	;; [unrolled: 1-line block ×3, first 2 shown]
	v_add_nc_u32_e32 v80, 0x1000, v18
	v_add_nc_u32_e32 v81, 0x1000, v19
	v_fma_f64 v[73:74], v[22:23], 2.0, -v[45:46]
	v_fma_f64 v[75:76], v[24:25], 2.0, -v[47:48]
	;; [unrolled: 1-line block ×3, first 2 shown]
	ds_write2_b64 v177, v[0:1], v[36:37] offset1:68
	ds_write2_b64 v177, v[2:3], v[51:52] offset0:136 offset1:204
	ds_write2_b64 v59, v[4:5], v[53:54] offset0:16 offset1:84
	;; [unrolled: 1-line block ×6, first 2 shown]
	s_waitcnt lgkmcnt(0)
	s_barrier
	buffer_gl0_inv
	ds_read2_b64 v[0:3], v177 offset0:68 offset1:136
	ds_read2_b64 v[12:15], v41 offset0:76 offset1:144
	;; [unrolled: 1-line block ×6, first 2 shown]
	ds_read_b64 v[24:25], v176
	ds_read_b64 v[26:27], v177 offset:7072
	v_fma_f64 v[28:29], v[28:29], 2.0, -v[65:66]
	s_waitcnt lgkmcnt(0)
	s_barrier
	buffer_gl0_inv
	ds_write2_b64 v177, v[67:68], v[61:62] offset1:68
	ds_write2_b64 v177, v[69:70], v[63:64] offset0:136 offset1:204
	ds_write2_b64 v59, v[71:72], v[43:44] offset0:16 offset1:84
	;; [unrolled: 1-line block ×6, first 2 shown]
	s_waitcnt lgkmcnt(0)
	s_barrier
	buffer_gl0_inv
	s_and_saveexec_b32 s0, vcc_lo
	s_cbranch_execz .LBB0_24
; %bb.23:
	v_mul_u32_u24_e32 v28, 6, v60
	v_mul_u32_u24_e32 v54, 6, v106
	v_mul_lo_u32 v85, s3, v108
	v_mul_lo_u32 v86, s2, v109
	v_lshlrev_b64 v[105:106], 4, v[104:105]
	v_lshlrev_b32_e32 v50, 4, v28
	v_lshlrev_b32_e32 v58, 4, v54
	v_mul_hi_u32 v60, 0xf0f0f0f1, v60
	v_add_nc_u32_e32 v87, 0x1000, v177
	v_add_nc_u32_e32 v89, 0xc00, v177
	s_clause 0xb
	global_load_dwordx4 v[28:31], v50, s[12:13] offset:1952
	global_load_dwordx4 v[34:37], v50, s[12:13] offset:1936
	;; [unrolled: 1-line block ×12, first 2 shown]
	v_mad_u64_u32 v[58:59], null, s2, v108, 0
	v_add_nc_u32_e32 v93, 0x800, v177
	v_lshrrev_b32_e32 v60, 7, v60
	v_add_nc_u32_e32 v97, 0x1400, v177
	v_add_nc_u32_e32 v101, 0x400, v177
	ds_read2_b64 v[81:84], v177 offset0:68 offset1:136
	ds_read_b64 v[108:109], v177 offset:7072
	ds_read_b64 v[110:111], v176
	v_add3_u32 v59, v59, v86, v85
	ds_read2_b64 v[85:88], v87 offset0:100 offset1:168
	ds_read2_b64 v[89:92], v89 offset0:92 offset1:160
	;; [unrolled: 1-line block ×5, first 2 shown]
	s_mov_b32 s18, 0xe976ee23
	s_mov_b32 s16, 0x36b3c0b5
	v_lshlrev_b64 v[58:59], 4, v[58:59]
	s_mov_b32 s20, 0x37e14327
	s_mov_b32 s8, 0x429ad128
	;; [unrolled: 1-line block ×5, first 2 shown]
	v_add_co_u32 v58, vcc_lo, s10, v58
	v_add_co_ci_u32_e32 v59, vcc_lo, s11, v59, vcc_lo
	s_mov_b32 s9, 0xbfebfeb5
	v_add_co_u32 v58, vcc_lo, v58, v105
	v_add_co_ci_u32_e32 v59, vcc_lo, v59, v106, vcc_lo
	v_mul_u32_u24_e32 v106, 0x330, v60
	v_add_co_u32 v58, vcc_lo, v58, v32
	v_add_co_ci_u32_e32 v59, vcc_lo, v59, v33, vcc_lo
	v_lshlrev_b64 v[32:33], 4, v[106:107]
	v_add_co_u32 v105, vcc_lo, 0x800, v58
	v_add_co_ci_u32_e32 v106, vcc_lo, 0, v59, vcc_lo
	v_add_co_u32 v112, vcc_lo, 0x1000, v58
	v_add_co_ci_u32_e32 v113, vcc_lo, 0, v59, vcc_lo
	;; [unrolled: 2-line block ×6, first 2 shown]
	s_mov_b32 s4, 0xb247c609
	s_mov_b32 s2, 0xaaaaaaaa
	;; [unrolled: 1-line block ×12, first 2 shown]
	v_add_co_u32 v122, vcc_lo, 0x3000, v58
	v_add_co_ci_u32_e32 v123, vcc_lo, 0, v59, vcc_lo
	v_add_co_u32 v124, vcc_lo, 0x800, v120
	v_add_co_ci_u32_e32 v125, vcc_lo, 0, v121, vcc_lo
	;; [unrolled: 2-line block ×3, first 2 shown]
	s_waitcnt vmcnt(11)
	v_mul_f64 v[32:33], v[20:21], v[28:29]
	s_waitcnt vmcnt(10)
	v_mul_f64 v[128:129], v[8:9], v[34:35]
	s_waitcnt vmcnt(9)
	v_mul_f64 v[130:131], v[4:5], v[38:39]
	s_waitcnt vmcnt(8)
	v_mul_f64 v[132:133], v[16:17], v[42:43]
	s_waitcnt vmcnt(7)
	v_mul_f64 v[134:135], v[12:13], v[46:47]
	s_waitcnt vmcnt(6)
	v_mul_f64 v[136:137], v[26:27], v[50:51]
	v_mul_f64 v[8:9], v[8:9], v[36:37]
	v_mul_f64 v[20:21], v[20:21], v[30:31]
	;; [unrolled: 1-line block ×6, first 2 shown]
	s_waitcnt vmcnt(3)
	v_mul_f64 v[142:143], v[14:15], v[65:66]
	s_waitcnt vmcnt(2)
	v_mul_f64 v[144:145], v[22:23], v[69:70]
	s_waitcnt vmcnt(1)
	v_mul_f64 v[146:147], v[2:3], v[73:74]
	s_waitcnt vmcnt(0)
	v_mul_f64 v[148:149], v[18:19], v[77:78]
	v_mul_f64 v[14:15], v[14:15], v[67:68]
	v_mul_f64 v[22:23], v[22:23], v[71:72]
	;; [unrolled: 1-line block ×8, first 2 shown]
	s_waitcnt lgkmcnt(4)
	v_fma_f64 v[30:31], v[85:86], v[30:31], v[32:33]
	s_waitcnt lgkmcnt(3)
	v_fma_f64 v[32:33], v[89:90], v[36:37], v[128:129]
	;; [unrolled: 2-line block ×5, first 2 shown]
	v_fma_f64 v[48:49], v[108:109], v[52:53], v[136:137]
	v_fma_f64 v[8:9], v[89:90], v[34:35], -v[8:9]
	v_fma_f64 v[20:21], v[85:86], v[28:29], -v[20:21]
	;; [unrolled: 1-line block ×6, first 2 shown]
	v_fma_f64 v[38:39], v[103:104], v[67:68], v[142:143]
	v_fma_f64 v[42:43], v[87:88], v[71:72], v[144:145]
	v_fma_f64 v[14:15], v[103:104], v[65:66], -v[14:15]
	v_fma_f64 v[22:23], v[87:88], v[69:70], -v[22:23]
	;; [unrolled: 1-line block ×4, first 2 shown]
	v_fma_f64 v[46:47], v[83:84], v[75:76], v[146:147]
	v_fma_f64 v[50:51], v[99:100], v[79:80], v[148:149]
	;; [unrolled: 1-line block ×4, first 2 shown]
	v_fma_f64 v[6:7], v[95:96], v[61:62], -v[6:7]
	v_fma_f64 v[10:11], v[91:92], v[54:55], -v[10:11]
	v_add_f64 v[52:53], v[30:31], -v[32:33]
	v_add_f64 v[54:55], v[36:37], -v[40:41]
	v_add_f64 v[30:31], v[30:31], v[32:33]
	v_add_f64 v[60:61], v[44:45], -v[48:49]
	v_add_f64 v[32:33], v[36:37], v[40:41]
	v_add_f64 v[62:63], v[20:21], v[8:9]
	;; [unrolled: 1-line block ×4, first 2 shown]
	v_add_f64 v[8:9], v[20:21], -v[8:9]
	v_add_f64 v[66:67], v[12:13], v[26:27]
	v_add_f64 v[4:5], v[4:5], -v[16:17]
	v_add_f64 v[12:13], v[12:13], -v[26:27]
	;; [unrolled: 1-line block ×3, first 2 shown]
	v_add_f64 v[16:17], v[14:15], v[22:23]
	v_add_f64 v[38:39], v[38:39], v[42:43]
	;; [unrolled: 1-line block ×3, first 2 shown]
	v_add_co_u32 v56, vcc_lo, 0x1800, v120
	v_add_f64 v[42:43], v[46:47], v[50:51]
	v_add_f64 v[26:27], v[28:29], -v[34:35]
	v_add_f64 v[44:45], v[46:47], -v[50:51]
	v_add_f64 v[48:49], v[10:11], v[6:7]
	v_add_f64 v[28:29], v[28:29], v[34:35]
	v_add_f64 v[6:7], v[10:11], -v[6:7]
	v_add_f64 v[10:11], v[14:15], -v[22:23]
	;; [unrolled: 1-line block ×3, first 2 shown]
	v_add_f64 v[2:3], v[52:53], v[54:55]
	v_add_f64 v[18:19], v[52:53], -v[54:55]
	v_add_f64 v[22:23], v[60:61], -v[52:53]
	;; [unrolled: 1-line block ×4, first 2 shown]
	v_add_f64 v[50:51], v[64:65], v[66:67]
	v_add_f64 v[70:71], v[32:33], v[36:37]
	;; [unrolled: 1-line block ×3, first 2 shown]
	v_add_f64 v[74:75], v[8:9], -v[4:5]
	v_add_f64 v[32:33], v[32:33], -v[36:37]
	;; [unrolled: 1-line block ×3, first 2 shown]
	v_add_f64 v[76:77], v[16:17], v[20:21]
	v_add_f64 v[34:35], v[62:63], -v[64:65]
	v_add_f64 v[46:47], v[66:67], -v[62:63]
	v_add_f64 v[4:5], v[38:39], v[42:43]
	v_add_f64 v[54:55], v[54:55], -v[60:61]
	v_add_f64 v[64:65], v[64:65], -v[66:67]
	;; [unrolled: 3-line block ×3, first 2 shown]
	v_add_f64 v[85:86], v[20:21], -v[48:49]
	v_add_f64 v[87:88], v[28:29], -v[38:39]
	;; [unrolled: 1-line block ×7, first 2 shown]
	v_add_f64 v[50:51], v[62:63], v[50:51]
	v_add_f64 v[91:92], v[6:7], v[10:11]
	v_add_f64 v[10:11], v[10:11], -v[14:15]
	v_add_f64 v[30:31], v[30:31], v[70:71]
	v_add_f64 v[8:9], v[12:13], -v[8:9]
	v_add_f64 v[26:27], v[44:45], -v[26:27]
	v_add_f64 v[38:39], v[48:49], v[76:77]
	v_add_f64 v[95:96], v[14:15], -v[6:7]
	v_add_f64 v[42:43], v[2:3], v[60:61]
	v_add_f64 v[28:29], v[28:29], v[4:5]
	v_mul_f64 v[18:19], v[18:19], s[18:19]
	v_mul_f64 v[48:49], v[34:35], s[16:17]
	;; [unrolled: 1-line block ×6, first 2 shown]
	v_add_f64 v[44:45], v[66:67], v[44:45]
	v_mul_f64 v[66:67], v[78:79], s[18:19]
	v_mul_f64 v[76:77], v[85:86], s[20:21]
	;; [unrolled: 1-line block ×3, first 2 shown]
	v_add_f64 v[12:13], v[72:73], v[12:13]
	v_mul_f64 v[72:73], v[36:37], s[8:9]
	v_add_f64 v[2:3], v[81:82], v[50:51]
	v_mul_f64 v[80:81], v[89:90], s[20:21]
	v_mul_f64 v[89:90], v[93:94], s[18:19]
	;; [unrolled: 1-line block ×3, first 2 shown]
	v_add_f64 v[14:15], v[91:92], v[14:15]
	v_mul_f64 v[91:92], v[10:11], s[8:9]
	v_add_f64 v[6:7], v[110:111], v[38:39]
	v_mul_f64 v[78:79], v[87:88], s[16:17]
	v_add_f64 v[0:1], v[0:1], v[30:31]
	v_add_f64 v[4:5], v[24:25], v[28:29]
	v_mul_f64 v[70:71], v[52:53], s[16:17]
	v_fma_f64 v[93:94], v[22:23], s[4:5], v[18:19]
	v_fma_f64 v[34:35], v[34:35], s[16:17], v[46:47]
	v_fma_f64 v[46:47], v[64:65], s[12:13], -v[46:47]
	v_fma_f64 v[24:25], v[8:9], s[4:5], v[62:63]
	v_fma_f64 v[22:23], v[22:23], s[14:15], -v[68:69]
	v_fma_f64 v[48:49], v[64:65], s[6:7], -v[48:49]
	v_fma_f64 v[18:19], v[54:55], s[8:9], -v[18:19]
	v_fma_f64 v[36:37], v[36:37], s[8:9], -v[62:63]
	v_fma_f64 v[54:55], v[26:27], s[4:5], v[66:67]
	v_fma_f64 v[62:63], v[83:84], s[16:17], v[76:77]
	v_fma_f64 v[26:27], v[26:27], s[14:15], -v[85:86]
	v_fma_f64 v[50:51], v[50:51], s[2:3], v[2:3]
	v_fma_f64 v[64:65], v[87:88], s[16:17], v[80:81]
	v_fma_f64 v[40:41], v[40:41], s[8:9], -v[66:67]
	v_fma_f64 v[66:67], v[16:17], s[12:13], -v[76:77]
	v_fma_f64 v[68:69], v[95:96], s[4:5], v[89:90]
	v_fma_f64 v[8:9], v[8:9], s[14:15], -v[72:73]
	v_fma_f64 v[38:39], v[38:39], s[2:3], v[6:7]
	v_fma_f64 v[16:17], v[16:17], s[6:7], -v[74:75]
	v_fma_f64 v[72:73], v[95:96], s[14:15], -v[91:92]
	v_fma_f64 v[28:29], v[28:29], s[2:3], v[4:5]
	v_fma_f64 v[74:75], v[20:21], s[12:13], -v[80:81]
	v_fma_f64 v[10:11], v[10:11], s[8:9], -v[89:90]
	;; [unrolled: 1-line block ×3, first 2 shown]
	v_fma_f64 v[52:53], v[52:53], s[16:17], v[60:61]
	v_fma_f64 v[30:31], v[30:31], s[2:3], v[0:1]
	v_fma_f64 v[60:61], v[32:33], s[12:13], -v[60:61]
	v_fma_f64 v[32:33], v[32:33], s[6:7], -v[70:71]
	v_fma_f64 v[70:71], v[42:43], s[0:1], v[93:94]
	v_fma_f64 v[76:77], v[12:13], s[0:1], v[24:25]
	;; [unrolled: 1-line block ×5, first 2 shown]
	v_add_f64 v[78:79], v[34:35], v[50:51]
	v_add_f64 v[34:35], v[46:47], v[50:51]
	;; [unrolled: 1-line block ×3, first 2 shown]
	v_fma_f64 v[46:47], v[44:45], s[0:1], v[26:27]
	v_fma_f64 v[40:41], v[44:45], s[0:1], v[40:41]
	;; [unrolled: 1-line block ×3, first 2 shown]
	v_add_f64 v[44:45], v[62:63], v[38:39]
	v_add_f64 v[48:49], v[66:67], v[38:39]
	v_fma_f64 v[62:63], v[14:15], s[0:1], v[68:69]
	v_add_f64 v[64:65], v[64:65], v[28:29]
	v_fma_f64 v[66:67], v[14:15], s[0:1], v[72:73]
	v_add_f64 v[72:73], v[74:75], v[28:29]
	v_add_f64 v[16:17], v[16:17], v[38:39]
	v_fma_f64 v[68:69], v[14:15], s[0:1], v[10:11]
	v_add_f64 v[20:21], v[20:21], v[28:29]
	v_add_f64 v[74:75], v[52:53], v[30:31]
	;; [unrolled: 1-line block ×3, first 2 shown]
	v_fma_f64 v[12:13], v[12:13], s[0:1], v[36:37]
	v_add_f64 v[80:81], v[32:33], v[30:31]
	v_add_co_ci_u32_e32 v57, vcc_lo, 0, v121, vcc_lo
	v_add_co_u32 v82, vcc_lo, 0x2000, v120
	v_add_f64 v[14:15], v[24:25], v[34:35]
	v_add_f64 v[26:27], v[34:35], -v[24:25]
	v_add_f64 v[18:19], v[42:43], -v[22:23]
	v_add_f64 v[22:23], v[22:23], v[42:43]
	v_add_f64 v[10:11], v[70:71], v[78:79]
	v_add_f64 v[50:51], v[44:45], -v[54:55]
	v_add_f64 v[34:35], v[46:47], v[48:49]
	v_add_f64 v[46:47], v[48:49], -v[46:47]
	v_add_f64 v[48:49], v[62:63], v[64:65]
	v_add_f64 v[30:31], v[54:55], v[44:45]
	;; [unrolled: 1-line block ×3, first 2 shown]
	v_add_f64 v[38:39], v[16:17], -v[40:41]
	v_add_f64 v[42:43], v[40:41], v[16:17]
	v_add_f64 v[40:41], v[20:21], -v[68:69]
	v_add_f64 v[36:37], v[68:69], v[20:21]
	v_add_f64 v[32:33], v[72:73], -v[66:67]
	v_add_f64 v[28:29], v[64:65], -v[62:63]
	;; [unrolled: 1-line block ×3, first 2 shown]
	v_add_f64 v[52:53], v[76:77], v[74:75]
	v_add_f64 v[24:25], v[8:9], v[60:61]
	v_add_f64 v[20:21], v[80:81], -v[12:13]
	v_add_f64 v[16:17], v[12:13], v[80:81]
	v_add_f64 v[12:13], v[60:61], -v[8:9]
	v_add_f64 v[8:9], v[74:75], -v[76:77]
	v_add_co_ci_u32_e32 v83, vcc_lo, 0, v121, vcc_lo
	v_add_co_u32 v60, vcc_lo, 0x2800, v120
	v_add_co_ci_u32_e32 v61, vcc_lo, 0, v121, vcc_lo
	v_add_co_u32 v62, vcc_lo, 0x3000, v120
	v_add_co_ci_u32_e32 v63, vcc_lo, 0, v121, vcc_lo
	global_store_dwordx4 v[58:59], v[4:7], off
	global_store_dwordx4 v[105:106], v[48:51], off offset:128
	global_store_dwordx4 v[112:113], v[44:47], off offset:256
	;; [unrolled: 1-line block ×13, first 2 shown]
.LBB0_24:
	s_endpgm
	.section	.rodata,"a",@progbits
	.p2align	6, 0x0
	.amdhsa_kernel fft_rtc_back_len952_factors_17_4_2_7_wgs_204_tpt_68_halfLds_dp_op_CI_CI_unitstride_sbrr_dirReg
		.amdhsa_group_segment_fixed_size 0
		.amdhsa_private_segment_fixed_size 12
		.amdhsa_kernarg_size 104
		.amdhsa_user_sgpr_count 6
		.amdhsa_user_sgpr_private_segment_buffer 1
		.amdhsa_user_sgpr_dispatch_ptr 0
		.amdhsa_user_sgpr_queue_ptr 0
		.amdhsa_user_sgpr_kernarg_segment_ptr 1
		.amdhsa_user_sgpr_dispatch_id 0
		.amdhsa_user_sgpr_flat_scratch_init 0
		.amdhsa_user_sgpr_private_segment_size 0
		.amdhsa_wavefront_size32 1
		.amdhsa_uses_dynamic_stack 0
		.amdhsa_system_sgpr_private_segment_wavefront_offset 1
		.amdhsa_system_sgpr_workgroup_id_x 1
		.amdhsa_system_sgpr_workgroup_id_y 0
		.amdhsa_system_sgpr_workgroup_id_z 0
		.amdhsa_system_sgpr_workgroup_info 0
		.amdhsa_system_vgpr_workitem_id 0
		.amdhsa_next_free_vgpr 255
		.amdhsa_next_free_sgpr 64
		.amdhsa_reserve_vcc 1
		.amdhsa_reserve_flat_scratch 0
		.amdhsa_float_round_mode_32 0
		.amdhsa_float_round_mode_16_64 0
		.amdhsa_float_denorm_mode_32 3
		.amdhsa_float_denorm_mode_16_64 3
		.amdhsa_dx10_clamp 1
		.amdhsa_ieee_mode 1
		.amdhsa_fp16_overflow 0
		.amdhsa_workgroup_processor_mode 1
		.amdhsa_memory_ordered 1
		.amdhsa_forward_progress 0
		.amdhsa_shared_vgpr_count 0
		.amdhsa_exception_fp_ieee_invalid_op 0
		.amdhsa_exception_fp_denorm_src 0
		.amdhsa_exception_fp_ieee_div_zero 0
		.amdhsa_exception_fp_ieee_overflow 0
		.amdhsa_exception_fp_ieee_underflow 0
		.amdhsa_exception_fp_ieee_inexact 0
		.amdhsa_exception_int_div_zero 0
	.end_amdhsa_kernel
	.text
.Lfunc_end0:
	.size	fft_rtc_back_len952_factors_17_4_2_7_wgs_204_tpt_68_halfLds_dp_op_CI_CI_unitstride_sbrr_dirReg, .Lfunc_end0-fft_rtc_back_len952_factors_17_4_2_7_wgs_204_tpt_68_halfLds_dp_op_CI_CI_unitstride_sbrr_dirReg
                                        ; -- End function
	.section	.AMDGPU.csdata,"",@progbits
; Kernel info:
; codeLenInByte = 14720
; NumSgprs: 66
; NumVgprs: 255
; ScratchSize: 12
; MemoryBound: 1
; FloatMode: 240
; IeeeMode: 1
; LDSByteSize: 0 bytes/workgroup (compile time only)
; SGPRBlocks: 8
; VGPRBlocks: 31
; NumSGPRsForWavesPerEU: 66
; NumVGPRsForWavesPerEU: 255
; Occupancy: 4
; WaveLimiterHint : 1
; COMPUTE_PGM_RSRC2:SCRATCH_EN: 1
; COMPUTE_PGM_RSRC2:USER_SGPR: 6
; COMPUTE_PGM_RSRC2:TRAP_HANDLER: 0
; COMPUTE_PGM_RSRC2:TGID_X_EN: 1
; COMPUTE_PGM_RSRC2:TGID_Y_EN: 0
; COMPUTE_PGM_RSRC2:TGID_Z_EN: 0
; COMPUTE_PGM_RSRC2:TIDIG_COMP_CNT: 0
	.text
	.p2alignl 6, 3214868480
	.fill 48, 4, 3214868480
	.type	__hip_cuid_7fcefa9fde237ef9,@object ; @__hip_cuid_7fcefa9fde237ef9
	.section	.bss,"aw",@nobits
	.globl	__hip_cuid_7fcefa9fde237ef9
__hip_cuid_7fcefa9fde237ef9:
	.byte	0                               ; 0x0
	.size	__hip_cuid_7fcefa9fde237ef9, 1

	.ident	"AMD clang version 19.0.0git (https://github.com/RadeonOpenCompute/llvm-project roc-6.4.0 25133 c7fe45cf4b819c5991fe208aaa96edf142730f1d)"
	.section	".note.GNU-stack","",@progbits
	.addrsig
	.addrsig_sym __hip_cuid_7fcefa9fde237ef9
	.amdgpu_metadata
---
amdhsa.kernels:
  - .args:
      - .actual_access:  read_only
        .address_space:  global
        .offset:         0
        .size:           8
        .value_kind:     global_buffer
      - .offset:         8
        .size:           8
        .value_kind:     by_value
      - .actual_access:  read_only
        .address_space:  global
        .offset:         16
        .size:           8
        .value_kind:     global_buffer
      - .actual_access:  read_only
        .address_space:  global
        .offset:         24
        .size:           8
        .value_kind:     global_buffer
      - .actual_access:  read_only
        .address_space:  global
        .offset:         32
        .size:           8
        .value_kind:     global_buffer
      - .offset:         40
        .size:           8
        .value_kind:     by_value
      - .actual_access:  read_only
        .address_space:  global
        .offset:         48
        .size:           8
        .value_kind:     global_buffer
      - .actual_access:  read_only
        .address_space:  global
        .offset:         56
        .size:           8
        .value_kind:     global_buffer
      - .offset:         64
        .size:           4
        .value_kind:     by_value
      - .actual_access:  read_only
        .address_space:  global
        .offset:         72
        .size:           8
        .value_kind:     global_buffer
      - .actual_access:  read_only
        .address_space:  global
        .offset:         80
        .size:           8
        .value_kind:     global_buffer
      - .actual_access:  read_only
        .address_space:  global
        .offset:         88
        .size:           8
        .value_kind:     global_buffer
      - .actual_access:  write_only
        .address_space:  global
        .offset:         96
        .size:           8
        .value_kind:     global_buffer
    .group_segment_fixed_size: 0
    .kernarg_segment_align: 8
    .kernarg_segment_size: 104
    .language:       OpenCL C
    .language_version:
      - 2
      - 0
    .max_flat_workgroup_size: 204
    .name:           fft_rtc_back_len952_factors_17_4_2_7_wgs_204_tpt_68_halfLds_dp_op_CI_CI_unitstride_sbrr_dirReg
    .private_segment_fixed_size: 12
    .sgpr_count:     66
    .sgpr_spill_count: 0
    .symbol:         fft_rtc_back_len952_factors_17_4_2_7_wgs_204_tpt_68_halfLds_dp_op_CI_CI_unitstride_sbrr_dirReg.kd
    .uniform_work_group_size: 1
    .uses_dynamic_stack: false
    .vgpr_count:     255
    .vgpr_spill_count: 2
    .wavefront_size: 32
    .workgroup_processor_mode: 1
amdhsa.target:   amdgcn-amd-amdhsa--gfx1030
amdhsa.version:
  - 1
  - 2
...

	.end_amdgpu_metadata
